;; amdgpu-corpus repo=ROCm/aiter kind=harvested arch=n/a opt=n/a

/root/src/amdgpu-assembly/repos/ROCm__aiter/hsa/gfx950/pa/pa_fp16_noquant_gqa16_1tg_4w.co:	file format elf64-amdgpu

Disassembly of section .text:

0000000000002200 <_ZN5aiter28pa_fp16_noquant_gqa16_1tg_4wE>:
	s_and_b32 s1, s1, 0xffff                                   // 000000002200: 8601FF01 0000FFFF
	s_load_dwordx2 s[8:9], s[0:1], 0x0                         // 000000002208: C0060200 00000000
	s_load_dwordx2 s[12:13], s[0:1], 0x10                      // 000000002210: C0060300 00000010
	s_load_dwordx2 s[16:17], s[0:1], 0x20                      // 000000002218: C0060400 00000020
	s_load_dwordx2 s[20:21], s[0:1], 0x30                      // 000000002220: C0060500 00000030
	s_load_dwordx2 s[24:25], s[0:1], 0x40                      // 000000002228: C0060600 00000040
	s_load_dwordx2 s[28:29], s[0:1], 0x50                      // 000000002230: C0060700 00000050
	s_load_dword s64, s[0:1], 0x80                             // 000000002238: C0021000 00000080
	s_load_dword s65, s[0:1], 0x90                             // 000000002240: C0021040 00000090
	s_load_dword s66, s[0:1], 0xa0                             // 000000002248: C0021080 000000A0
	s_load_dword s74, s[0:1], 0xb0                             // 000000002250: C0021280 000000B0
	s_load_dword s68, s[0:1], 0xc0                             // 000000002258: C0021100 000000C0
	s_load_dword s69, s[0:1], 0xd0                             // 000000002260: C0021140 000000D0
	s_load_dword s77, s[0:1], 0xe0                             // 000000002268: C0021340 000000E0
	v_lshrrev_b32_e32 v1, 10, v0                               // 000000002270: 2002008A
	v_lshrrev_b32_e32 v2, 10, v1                               // 000000002274: 2004028A
	v_and_b32_e32 v2, 0x3ff, v2                                // 000000002278: 260404FF 000003FF
	v_and_b32_e32 v1, 0x3ff, v1                                // 000000002280: 260202FF 000003FF
	v_and_b32_e32 v0, 0x3ff, v0                                // 000000002288: 260000FF 000003FF
	v_lshrrev_b32_e32 v3, 6, v0                                // 000000002290: 20060086
	v_and_b32_e32 v0, 63, v0                                   // 000000002294: 260000BF
	s_mov_b32 s2, s2                                           // 000000002298: BE820002
	s_mov_b32 s3, s3                                           // 00000000229C: BE830003
	s_mov_b32 s4, s4                                           // 0000000022A0: BE840004
	v_readfirstlane_b32 s7, v3                                 // 0000000022A4: 7E0E0503
	s_waitcnt lgkmcnt(0)                                       // 0000000022A8: BF8CC07F
	s_mul_i32 s67, 0x100, s77                                  // 0000000022AC: 92434DFF 00000100
	s_mul_i32 s76, 0x100, s77                                  // 0000000022B4: 924C4DFF 00000100
	s_mul_i32 s75, s66, s76                                    // 0000000022BC: 924B4C42
	s_mul_i32 s60, s3, 4                                       // 0000000022C0: 923C8403
	s_and_b32 s29, s29, 0xffff                                 // 0000000022C4: 861DFF1D 0000FFFF
	s_add_u32 s28, s60, s28                                    // 0000000022CC: 801C1C3C
	s_addc_u32 s29, 0, s29                                     // 0000000022D0: 821D1D80
	s_load_dword s72, s[28:29], 0x0                            // 0000000022D4: C002120E 00000000
	s_mov_b32 s10, s76                                         // 0000000022DC: BE8A004C
	s_mov_b32 s14, s67                                         // 0000000022E0: BE8E0043
	s_mul_i32 s60, 4, s65                                      // 0000000022E4: 923C4184
	s_mov_b32 s26, s60                                         // 0000000022E8: BE9A003C
	s_mov_b32 s18, 0x80000000                                  // 0000000022EC: BE9200FF 80000000
	s_mov_b32 s22, 0x80000000                                  // 0000000022F4: BE9600FF 80000000
	s_mov_b32 s11, 0x20000                                     // 0000000022FC: BE8B00FF 00020000
	s_mov_b32 s15, 0x20000                                     // 000000002304: BE8F00FF 00020000
	s_mov_b32 s19, 0x20000                                     // 00000000230C: BE9300FF 00020000
	s_mov_b32 s23, 0x20000                                     // 000000002314: BE9700FF 00020000
	s_mov_b32 s27, 0x20000                                     // 00000000231C: BE9B00FF 00020000
	s_and_b32 s9, s9, 0xffff                                   // 000000002324: 8609FF09 0000FFFF
	s_and_b32 s13, s13, 0xffff                                 // 00000000232C: 860DFF0D 0000FFFF
	s_and_b32 s17, s17, 0xffff                                 // 000000002334: 8611FF11 0000FFFF
	s_and_b32 s21, s21, 0xffff                                 // 00000000233C: 8615FF15 0000FFFF
	s_and_b32 s25, s25, 0xffff                                 // 000000002344: 8619FF19 0000FFFF
	s_or_b32 s9, s9, 0x40000                                   // 00000000234C: 8709FF09 00040000
	s_or_b32 s13, s13, 0x40000                                 // 000000002354: 870DFF0D 00040000
	s_or_b32 s17, s17, 0x40000                                 // 00000000235C: 8711FF11 00040000
	s_or_b32 s21, s21, 0x40000                                 // 000000002364: 8715FF15 00040000
	s_or_b32 s25, s25, 0x40000                                 // 00000000236C: 8719FF19 00040000
	v_accvgpr_write_b32 a255, 0                                // 000000002374: D3D940FF 18000080
	v_mov_b32_e32 v151, 0                                      // 00000000237C: 7F2E0280
	s_mul_i32 s60, s3, s65                                     // 000000002380: 923C4103
	s_mul_i32 s60, s60, 4                                      // 000000002384: 923C843C
	s_add_u32 s24, s60, s24                                    // 000000002388: 8018183C
	s_addc_u32 s25, 0, s25                                     // 00000000238C: 82191980
	s_mov_b32 s56, 64                                          // 000000002390: BEB800C0
	s_waitcnt lgkmcnt(0)                                       // 000000002394: BF8CC07F
	s_add_u32 s73, s72, 15                                     // 000000002398: 80498F48
	s_lshr_b32 s73, s73, 4                                     // 00000000239C: 8F498449
	s_mul_i32 s60, s73, 4                                      // 0000000023A0: 923C8449
	s_mov_b32 s26, s60                                         // 0000000023A4: BE9A003C
	v_and_b32_e32 v39, 3, v0                                   // 0000000023A8: 264E0083
	v_cmp_eq_u32_e64 s[60:61], 0, v39                          // 0000000023AC: D0CA003C 00024E80
	v_and_b32_e32 v38, 12, v0                                  // 0000000023B4: 264C008C
	v_add_u32_e32 v1, s7, v38                                  // 0000000023B8: 68024C07
	v_cndmask_b32_e64 v1, 0, v1, s[60:61]                      // 0000000023BC: D1000001 00F20280
	v_and_b32_e32 v39, 3, v0                                   // 0000000023C4: 264E0083
	v_cmp_eq_u32_e64 s[60:61], 0, v39                          // 0000000023C8: D0CA003C 00024E80
	v_lshrrev_b32_e32 v38, 5, v0                               // 0000000023D0: 204C0085
	v_and_b32_e32 v39, 14, v0                                  // 0000000023D4: 264E008E
	v_add_u32_e32 v38, v39, v38                                // 0000000023D8: 684C4D27
	v_cndmask_b32_e64 v38, v38, 0, s[60:61]                    // 0000000023DC: D1000026 00F10126
	v_add_u32_e32 v1, v1, v38                                  // 0000000023E4: 68024D01
	v_lshlrev_b32_e32 v1, 2, v1                                // 0000000023E8: 24020282
	v_writelane_b32 v1, 56, 7                                  // 0000000023EC: D28A0001 00010EB8
	v_writelane_b32 v1, 56, 23                                 // 0000000023F4: D28A0001 00012EB8
	v_writelane_b32 v1, 60, 39                                 // 0000000023FC: D28A0001 00014EBC
	v_writelane_b32 v1, 60, 55                                 // 000000002404: D28A0001 00016EBC
	buffer_load_dword v16, v1, s[24:27], 0 offen               // 00000000240C: E0501000 80061001
	v_add_u32_e32 v1, s56, v1                                  // 000000002414: 68020238
	buffer_load_dword v17, v1, s[24:27], 0 offen               // 000000002418: E0501000 80061101
	s_cmp_le_u32 s73, 32                                       // 000000002420: BF0BA049
	s_cselect_b32 s56, 0, s56                                  // 000000002424: 85383880
	s_mul_i32 s61, s2, s67                                     // 000000002428: 923D4302
	s_mul_i32 s60, s3, s74                                     // 00000000242C: 923C4A03
	s_add_u32 s60, s60, s61                                    // 000000002430: 803C3D3C
	s_add_u32 s12, s60, s12                                    // 000000002434: 800C0C3C
	s_addc_u32 s13, 0, s13                                     // 000000002438: 820D0D80
	s_mul_i32 s60, s7, 0x420                                   // 00000000243C: 923CFF07 00000420
	s_add_u32 m0, 0, s60                                       // 000000002444: 807C3C80
	s_mul_i32 s60, s7, 0x100                                   // 000000002448: 923CFF07 00000100
	v_lshlrev_b32_e32 v38, 2, v0                               // 000000002450: 244C0082
	v_add_u32_e64 v38, v38, s60                                // 000000002454: D1340026 00007926
	buffer_load_dword v38, s[12:15], 0 offen lds               // 00000000245C: E0511000 80030026
	s_add_u32 m0, m0, 0x100                                    // 000000002464: 807CFF7C 00000100
	v_add_u32_e32 v38, 0x400, v38                              // 00000000246C: 684C4CFF 00000400
	buffer_load_dword v38, s[12:15], 0 offen lds               // 000000002474: E0511000 80030026
	s_add_u32 m0, m0, 0x100                                    // 00000000247C: 807CFF7C 00000100
	v_add_u32_e32 v38, 0x400, v38                              // 000000002484: 684C4CFF 00000400
	buffer_load_dword v38, s[12:15], 0 offen lds               // 00000000248C: E0511000 80030026
	s_add_u32 m0, m0, 0x100                                    // 000000002494: 807CFF7C 00000100
	v_add_u32_e32 v38, 0x400, v38                              // 00000000249C: 684C4CFF 00000400
	buffer_load_dword v38, s[12:15], 0 offen lds               // 0000000024A4: E0511000 80030026
	s_add_u32 m0, m0, 0x100                                    // 0000000024AC: 807CFF7C 00000100
	v_add_u32_e32 v38, 0x400, v38                              // 0000000024B4: 684C4CFF 00000400
	s_mul_i32 s61, s2, s76                                     // 0000000024BC: 923D4C02
	s_mul_i32 s60, s3, s75                                     // 0000000024C0: 923C4B03
	s_add_u32 s60, s60, s61                                    // 0000000024C4: 803C3D3C
	s_add_u32 s8, s60, s8                                      // 0000000024C8: 8008083C
	s_addc_u32 s9, 0, s9                                       // 0000000024CC: 82090980
	s_mul_i32 s60, s7, 0x100                                   // 0000000024D0: 923CFF07 00000100
	v_lshlrev_b32_e32 v8, 2, v0                                // 0000000024D8: 24100082
	v_add_u32_e64 v8, v8, s60                                  // 0000000024DC: D1340008 00007908
	s_mov_b32 s70, 0                                           // 0000000024E4: BEC60080
	s_and_b32 s71, s72, 0xffffff00                             // 0000000024E8: 8647FF48 FFFFFF00
	v_mov_b32_e32 v51, s68                                     // 0000000024F0: 7E660244
	v_mov_b32_e32 v9, -1                                       // 0000000024F4: 7E1202C1
	s_mov_b32 s52, 0x7060302                                   // 0000000024F8: BEB400FF 07060302
	s_mov_b32 s53, 0x400                                       // 000000002500: BEB500FF 00000400
	s_mov_b32 s54, 0x40100                                     // 000000002508: BEB600FF 00040100
	s_mov_b32 s55, 0x4020100                                   // 000000002510: BEB700FF 04020100
	v_mov_b32_dpp v9, v9 row_shl:8 row_mask:0xf bank_mask:0xf bound_ctrl:1// 000000002518: 7E1202FA FF090809
	s_mov_b32 s6, 0x3fb8aa3b                                   // 000000002520: BE8600FF 3FB8AA3B
	v_mov_b32_e32 v14, 0xff800000                              // 000000002528: 7E1C02FF FF800000
	v_mov_b32_e32 v52, 0xff800000                              // 000000002530: 7E6802FF FF800000
	v_mov_b32_e32 v49, 0                                       // 000000002538: 7E620280
	v_mov_b32_e32 v42, 0                                       // 00000000253C: 7E540280
	v_mov_b32_e32 v19, 0xffff0000                              // 000000002540: 7E2602FF FFFF0000
	v_mov_b32_e32 v20, 0x7fff0000                              // 000000002548: 7E2802FF 7FFF0000
	v_mov_b32_e32 v21, 0x7fff                                  // 000000002550: 7E2A02FF 00007FFF
	v_add_u32_e32 v1, s56, v1                                  // 000000002558: 68020238
	v_and_b32_e32 v10, 15, v0                                  // 00000000255C: 2614008F
	v_lshlrev_b32_e32 v10, 2, v10                              // 000000002560: 24141482
	v_lshlrev_b32_e32 v11, 2, v0                               // 000000002564: 24160082
	s_mul_i32 s60, 0x100, s7                                   // 000000002568: 923C07FF 00000100
	v_add_u32_e32 v11, s60, v11                                // 000000002570: 6816163C
	v_lshrrev_b32_e32 v38, 4, v0                               // 000000002574: 204C0084
	v_lshlrev_b32_e32 v39, 6, v38                              // 000000002578: 244E4C86
	v_and_b32_e32 v38, 15, v0                                  // 00000000257C: 264C008F
	v_lshlrev_b32_e32 v38, 1, v38                              // 000000002580: 244C4C81
	v_add_u32_e32 v39, v38, v39                                // 000000002584: 684E4F26
	v_lshlrev_b32_e32 v12, 2, v39                              // 000000002588: 24184E82
	v_lshlrev_b32_e32 v38, 3, v0                               // 00000000258C: 244C0083
	s_mul_i32 s60, 0x200, s7                                   // 000000002590: 923C07FF 00000200
	v_add_u32_e64 v13, v38, s60                                // 000000002598: D134000D 00007926
	v_lshlrev_b32_e32 v6, 4, v0                                // 0000000025A0: 240C0084
	s_mul_i32 s60, s2, s69                                     // 0000000025A4: 923C4502
	s_add_u32 s16, s60, s16                                    // 0000000025A8: 8010103C
	s_addc_u32 s17, 0, s17                                     // 0000000025AC: 82111180
	v_and_b32_e32 v38, 15, v0                                  // 0000000025B0: 264C008F
	v_lshlrev_b32_e32 v7, 4, v38                               // 0000000025B4: 240E4C84
	v_and_b32_e32 v38, 31, v0                                  // 0000000025B8: 264C009F
	v_lshrrev_b32_e32 v38, 4, v38                              // 0000000025BC: 204C4C84
	v_mul_i32_i24_e32 v38, 0x800, v38                          // 0000000025C0: 0C4C4CFF 00000800
	v_add_u32_e32 v7, v38, v7                                  // 0000000025C8: 680E0F26
	s_mul_i32 s61, s2, s69                                     // 0000000025CC: 923D4502
	s_mul_i32 s60, s7, 0x100                                   // 0000000025D0: 923CFF07 00000100
	s_add_u32 s60, s60, s61                                    // 0000000025D8: 803C3D3C
	s_add_u32 s20, s60, s20                                    // 0000000025DC: 8014143C
	s_addc_u32 s21, 0, s21                                     // 0000000025E0: 82151580
	s_waitcnt vmcnt(4)                                         // 0000000025E4: BF8C0F74
	v_mul_u32_u24_dpp v38, v16, v51 row_newbcast:0 row_mask:0xf bank_mask:0xf// 0000000025E8: 104C66FA FF015010
	v_mul_u32_u24_dpp v39, v16, v51 row_newbcast:4 row_mask:0xf bank_mask:0xf// 0000000025F0: 104E66FA FF015410
	v_mul_u32_u24_dpp v40, v16, v51 row_newbcast:8 row_mask:0xf bank_mask:0xf// 0000000025F8: 105066FA FF015810
	v_mul_u32_u24_dpp v41, v16, v51 row_newbcast:12 row_mask:0xf bank_mask:0xf// 000000002600: 105266FA FF015C10
	v_add_u32_e32 v22, v38, v6                                 // 000000002608: 682C0D26
	v_add_u32_e32 v23, v39, v6                                 // 00000000260C: 682E0D27
	v_add_u32_e32 v24, v40, v6                                 // 000000002610: 68300D28
	v_add_u32_e32 v25, v41, v6                                 // 000000002614: 68320D29
	v_mul_u32_u24_dpp v38, v16, v51 row_newbcast:1 row_mask:0xf bank_mask:0xf// 000000002618: 104C66FA FF015110
	v_mul_u32_u24_dpp v39, v16, v51 row_newbcast:2 row_mask:0xf bank_mask:0xf// 000000002620: 104E66FA FF015210
	v_mul_u32_u24_dpp v40, v16, v51 row_newbcast:5 row_mask:0xf bank_mask:0xf// 000000002628: 105066FA FF015510
	v_mul_u32_u24_dpp v41, v16, v51 row_newbcast:6 row_mask:0xf bank_mask:0xf// 000000002630: 105266FA FF015610
	v_add_u32_e32 v136, v38, v7                                // 000000002638: 69100F26
	v_add_u32_e32 v137, v39, v7                                // 00000000263C: 69120F27
	v_add_u32_e32 v138, v40, v7                                // 000000002640: 69140F28
	v_add_u32_e32 v139, v41, v7                                // 000000002644: 69160F29
	v_mul_u32_u24_dpp v38, v16, v51 row_newbcast:9 row_mask:0xf bank_mask:0xf// 000000002648: 104C66FA FF015910
	v_mul_u32_u24_dpp v39, v16, v51 row_newbcast:10 row_mask:0xf bank_mask:0xf// 000000002650: 104E66FA FF015A10
	v_mul_u32_u24_dpp v40, v16, v51 row_newbcast:13 row_mask:0xf bank_mask:0xf// 000000002658: 105066FA FF015D10
	v_mul_u32_u24_dpp v41, v16, v51 row_newbcast:7 row_mask:0xf bank_mask:0xf// 000000002660: 105266FA FF015710
	v_add_u32_e32 v140, v38, v7                                // 000000002668: 69180F26
	v_add_u32_e32 v141, v39, v7                                // 00000000266C: 691A0F27
	v_add_u32_e32 v142, v40, v7                                // 000000002670: 691C0F28
	v_add_u32_e32 v143, v41, v7                                // 000000002674: 691E0F29
	buffer_load_dwordx4 a[0:3], v22, s[16:19], 0 offen         // 000000002678: E05C1000 80840016
	buffer_load_dwordx4 a[4:7], v22, s[16:19], 0 offen offset:1024// 000000002680: E05C1400 80840416
	buffer_load_dwordx4 a[8:11], v22, s[16:19], 0 offen offset:2048// 000000002688: E05C1800 80840816
	buffer_load_dwordx4 a[12:15], v22, s[16:19], 0 offen offset:3072// 000000002690: E05C1C00 80840C16
	buffer_load_dwordx4 a[16:19], v23, s[16:19], 0 offen       // 000000002698: E05C1000 80841017
	buffer_load_dwordx4 a[20:23], v23, s[16:19], 0 offen offset:1024// 0000000026A0: E05C1400 80841417
	buffer_load_dwordx4 a[24:27], v23, s[16:19], 0 offen offset:2048// 0000000026A8: E05C1800 80841817
	buffer_load_dwordx4 a[28:31], v23, s[16:19], 0 offen offset:3072// 0000000026B0: E05C1C00 80841C17
	buffer_load_dwordx4 a[32:35], v24, s[16:19], 0 offen       // 0000000026B8: E05C1000 80842018
	buffer_load_dwordx4 a[36:39], v24, s[16:19], 0 offen offset:1024// 0000000026C0: E05C1400 80842418
	buffer_load_dwordx4 a[40:43], v24, s[16:19], 0 offen offset:2048// 0000000026C8: E05C1800 80842818
	buffer_load_dwordx4 a[44:47], v24, s[16:19], 0 offen offset:3072// 0000000026D0: E05C1C00 80842C18
	buffer_load_dwordx4 a[48:51], v25, s[16:19], 0 offen       // 0000000026D8: E05C1000 80843019
	buffer_load_dwordx4 a[52:55], v25, s[16:19], 0 offen offset:1024// 0000000026E0: E05C1400 80843419
	buffer_load_dwordx4 a[56:59], v25, s[16:19], 0 offen offset:2048// 0000000026E8: E05C1800 80843819
	buffer_load_dwordx4 a[60:63], v25, s[16:19], 0 offen offset:3072// 0000000026F0: E05C1C00 80843C19
	buffer_load_dwordx4 a[128:131], v136, s[20:23], 0 offen    // 0000000026F8: E05C1000 80858088
	buffer_load_dwordx4 a[132:135], v137, s[20:23], 0 offen    // 000000002700: E05C1000 80858489
	buffer_load_dwordx4 a[136:139], v138, s[20:23], 0 offen    // 000000002708: E05C1000 8085888A
	buffer_load_dwordx4 a[140:143], v139, s[20:23], 0 offen    // 000000002710: E05C1000 80858C8B
	buffer_load_dwordx4 a[144:147], v140, s[20:23], 0 offen    // 000000002718: E05C1000 8085908C
	buffer_load_dwordx4 a[148:151], v141, s[20:23], 0 offen    // 000000002720: E05C1000 8085948D
	buffer_load_dwordx4 a[152:155], v142, s[20:23], 0 offen    // 000000002728: E05C1000 8085988E
	buffer_load_dwordx4 a[156:159], v143, s[20:23], 0 offen    // 000000002730: E05C1000 80859C8F
	buffer_load_dwordx4 a[160:163], v136, s[20:23], 0 offen offset:1024// 000000002738: E05C1400 8085A088
	buffer_load_dwordx4 a[164:167], v137, s[20:23], 0 offen offset:1024// 000000002740: E05C1400 8085A489
	buffer_load_dwordx4 a[168:171], v138, s[20:23], 0 offen offset:1024// 000000002748: E05C1400 8085A88A
	buffer_load_dwordx4 a[172:175], v139, s[20:23], 0 offen offset:1024// 000000002750: E05C1400 8085AC8B
	buffer_load_dwordx4 a[176:179], v140, s[20:23], 0 offen offset:1024// 000000002758: E05C1400 8085B08C
	buffer_load_dwordx4 a[180:183], v141, s[20:23], 0 offen offset:1024// 000000002760: E05C1400 8085B48D
	buffer_load_dwordx4 a[184:187], v142, s[20:23], 0 offen offset:1024// 000000002768: E05C1400 8085B88E
	buffer_load_dwordx4 a[188:191], v143, s[20:23], 0 offen offset:1024// 000000002770: E05C1400 8085BC8F
	v_lshrrev_b32_e32 v38, 4, v0                               // 000000002778: 204C0084
	v_lshlrev_b32_e32 v39, 2, v38                              // 00000000277C: 244E4C82
	v_and_b32_e32 v38, 15, v0                                  // 000000002780: 264C008F
	v_lshrrev_b32_e32 v40, 2, v38                              // 000000002784: 20504C82
	v_lshlrev_b32_e32 v40, 6, v40                              // 000000002788: 24505086
	v_add_u32_e32 v39, v40, v39                                // 00000000278C: 684E4F28
	v_and_b32_e32 v38, 3, v0                                   // 000000002790: 264C0083
	v_mul_i32_i24_e32 v40, 0x108, v38                          // 000000002794: 0C504CFF 00000108
	v_add_u32_e32 v39, v40, v39                                // 00000000279C: 684E4F28
	v_lshlrev_b32_e32 v4, 2, v39                               // 0000000027A0: 24084E82
	s_waitcnt vmcnt(32) lgkmcnt(0)                             // 0000000027A4: BF8C8070
	s_barrier                                                  // 0000000027A8: BF8A0000
	ds_read_b128 v[80:83], v4                                  // 0000000027AC: D9FE0000 50000004
	ds_read_b128 v[84:87], v4 offset:64                        // 0000000027B4: D9FE0040 54000004
	ds_read_b128 v[88:91], v4 offset:128                       // 0000000027BC: D9FE0080 58000004
	ds_read_b128 v[92:95], v4 offset:192                       // 0000000027C4: D9FE00C0 5C000004
	v_mov_b32_e32 v128, 0                                      // 0000000027CC: 7F000280
	v_mov_b32_e32 v129, 0                                      // 0000000027D0: 7F020280
	v_mov_b32_e32 v130, 0                                      // 0000000027D4: 7F040280
	v_mov_b32_e32 v131, 0                                      // 0000000027D8: 7F060280
	v_mov_b32_e32 v132, 0                                      // 0000000027DC: 7F080280
	v_mov_b32_e32 v133, 0                                      // 0000000027E0: 7F0A0280
	v_mov_b32_e32 v134, 0                                      // 0000000027E4: 7F0C0280
	v_mov_b32_e32 v135, 0                                      // 0000000027E8: 7F0E0280
	s_waitcnt vmcnt(16) lgkmcnt(0)                             // 0000000027EC: BF8C4070
	s_barrier                                                  // 0000000027F0: BF8A0000
	v_mul_u32_u24_dpp v38, v17, v51 row_newbcast:0 row_mask:0xf bank_mask:0xf// 0000000027F4: 104C66FA FF015011
	v_mul_u32_u24_dpp v39, v17, v51 row_newbcast:4 row_mask:0xf bank_mask:0xf// 0000000027FC: 104E66FA FF015411
	v_mul_u32_u24_dpp v40, v17, v51 row_newbcast:8 row_mask:0xf bank_mask:0xf// 000000002804: 105066FA FF015811
	v_mul_u32_u24_dpp v41, v17, v51 row_newbcast:12 row_mask:0xf bank_mask:0xf// 00000000280C: 105266FA FF015C11
	v_add_u32_e32 v26, v38, v6                                 // 000000002814: 68340D26
	v_add_u32_e32 v27, v39, v6                                 // 000000002818: 68360D27
	v_add_u32_e32 v28, v40, v6                                 // 00000000281C: 68380D28
	v_add_u32_e32 v29, v41, v6                                 // 000000002820: 683A0D29
	v_mul_u32_u24_dpp v38, v17, v51 row_newbcast:1 row_mask:0xf bank_mask:0xf// 000000002824: 104C66FA FF015111
	v_mul_u32_u24_dpp v39, v17, v51 row_newbcast:2 row_mask:0xf bank_mask:0xf// 00000000282C: 104E66FA FF015211
	v_mul_u32_u24_dpp v40, v17, v51 row_newbcast:5 row_mask:0xf bank_mask:0xf// 000000002834: 105066FA FF015511
	v_mul_u32_u24_dpp v41, v17, v51 row_newbcast:6 row_mask:0xf bank_mask:0xf// 00000000283C: 105266FA FF015611
	v_add_u32_e32 v144, v38, v7                                // 000000002844: 69200F26
	v_add_u32_e32 v145, v39, v7                                // 000000002848: 69220F27
	v_add_u32_e32 v146, v40, v7                                // 00000000284C: 69240F28
	v_add_u32_e32 v147, v41, v7                                // 000000002850: 69260F29
	v_mul_u32_u24_dpp v38, v17, v51 row_newbcast:9 row_mask:0xf bank_mask:0xf// 000000002854: 104C66FA FF015911
	v_mul_u32_u24_dpp v39, v17, v51 row_newbcast:10 row_mask:0xf bank_mask:0xf// 00000000285C: 104E66FA FF015A11
	v_mul_u32_u24_dpp v40, v17, v51 row_newbcast:13 row_mask:0xf bank_mask:0xf// 000000002864: 105066FA FF015D11
	v_mul_u32_u24_dpp v41, v17, v51 row_newbcast:7 row_mask:0xf bank_mask:0xf// 00000000286C: 105266FA FF015711
	v_add_u32_e32 v148, v38, v7                                // 000000002874: 69280F26
	v_add_u32_e32 v149, v39, v7                                // 000000002878: 692A0F27
	v_add_u32_e32 v150, v40, v7                                // 00000000287C: 692C0F28
	v_add_u32_e32 v151, v41, v7                                // 000000002880: 692E0F29
	s_cmp_lt_u32 s73, 16                                       // 000000002884: BF0A9049
	s_cbranch_scc1 label_08E9                                  // 000000002888: BF850746
	s_cmp_lt_i32 s7, 2                                         // 00000000288C: BF048207
	s_cbranch_scc0 label_0547                                  // 000000002890: BF8403A2

0000000000002894 <label_01A5>:
	s_waitcnt vmcnt(16) lgkmcnt(0)                             // 000000002894: BF8C4070
	v_mfma_f32_16x16x16_f16 v[96:99], a[0:1], v[80:81], 0      // 000000002898: D3CD0060 0A02A100
	v_mfma_f32_16x16x16_f16 v[96:99], a[2:3], v[82:83], v[96:99]// 0000000028A0: D3CD0060 0D82A502
	buffer_load_dwordx4 a[64:67], v26, s[16:19], 0 offen       // 0000000028A8: E05C1000 8084401A
	v_mfma_f32_16x16x16_f16 v[96:99], a[4:5], v[84:85], v[96:99]// 0000000028B0: D3CD0060 0D82A904
	v_mfma_f32_16x16x16_f16 v[96:99], a[6:7], v[86:87], v[96:99]// 0000000028B8: D3CD0060 0D82AD06
	buffer_load_dword v16, v1, s[24:27], 0 offen               // 0000000028C0: E0501000 80061001
	v_mfma_f32_16x16x16_f16 v[96:99], a[8:9], v[88:89], v[96:99]// 0000000028C8: D3CD0060 0D82B108
	v_mfma_f32_16x16x16_f16 v[96:99], a[10:11], v[90:91], v[96:99]// 0000000028D0: D3CD0060 0D82B50A
	buffer_load_dwordx4 a[68:71], v26, s[16:19], 0 offen offset:1024// 0000000028D8: E05C1400 8084441A
	v_mfma_f32_16x16x16_f16 v[96:99], a[12:13], v[92:93], v[96:99]// 0000000028E0: D3CD0060 0D82B90C
	v_mfma_f32_16x16x16_f16 v[96:99], a[14:15], v[94:95], v[96:99]// 0000000028E8: D3CD0060 0D82BD0E
	v_mfma_f32_16x16x16_f16 v[100:103], a[16:17], v[80:81], 0  // 0000000028F0: D3CD0064 0A02A110
	v_mfma_f32_16x16x16_f16 v[100:103], a[18:19], v[82:83], v[100:103]// 0000000028F8: D3CD0064 0D92A512
	buffer_load_dwordx4 a[72:75], v26, s[16:19], 0 offen offset:2048// 000000002900: E05C1800 8084481A
	v_mfma_f32_16x16x16_f16 v[100:103], a[20:21], v[84:85], v[100:103]// 000000002908: D3CD0064 0D92A914
	v_mfma_f32_16x16x16_f16 v[100:103], a[22:23], v[86:87], v[100:103]// 000000002910: D3CD0064 0D92AD16
	v_mfma_f32_16x16x16_f16 v[100:103], a[24:25], v[88:89], v[100:103]// 000000002918: D3CD0064 0D92B118
	v_mfma_f32_16x16x16_f16 v[100:103], a[26:27], v[90:91], v[100:103]// 000000002920: D3CD0064 0D92B51A
	buffer_load_dwordx4 a[76:79], v26, s[16:19], 0 offen offset:3072// 000000002928: E05C1C00 80844C1A
	v_mfma_f32_16x16x16_f16 v[100:103], a[28:29], v[92:93], v[100:103]// 000000002930: D3CD0064 0D92B91C
	v_mfma_f32_16x16x16_f16 v[100:103], a[30:31], v[94:95], v[100:103]// 000000002938: D3CD0064 0D92BD1E
	v_mfma_f32_16x16x16_f16 v[104:107], a[32:33], v[80:81], 0  // 000000002940: D3CD0068 0A02A120
	v_mfma_f32_16x16x16_f16 v[104:107], a[34:35], v[82:83], v[104:107]// 000000002948: D3CD0068 0DA2A522
	buffer_load_dwordx4 a[80:83], v27, s[16:19], 0 offen       // 000000002950: E05C1000 8084501B
	v_mfma_f32_16x16x16_f16 v[104:107], a[36:37], v[84:85], v[104:107]// 000000002958: D3CD0068 0DA2A924
	v_mfma_f32_16x16x16_f16 v[104:107], a[38:39], v[86:87], v[104:107]// 000000002960: D3CD0068 0DA2AD26
	v_mfma_f32_16x16x16_f16 v[104:107], a[40:41], v[88:89], v[104:107]// 000000002968: D3CD0068 0DA2B128
	v_mfma_f32_16x16x16_f16 v[104:107], a[42:43], v[90:91], v[104:107]// 000000002970: D3CD0068 0DA2B52A
	buffer_load_dwordx4 a[84:87], v27, s[16:19], 0 offen offset:1024// 000000002978: E05C1400 8084541B
	v_mfma_f32_16x16x16_f16 v[104:107], a[44:45], v[92:93], v[104:107]// 000000002980: D3CD0068 0DA2B92C
	v_mfma_f32_16x16x16_f16 v[104:107], a[46:47], v[94:95], v[104:107]// 000000002988: D3CD0068 0DA2BD2E
	v_mfma_f32_16x16x16_f16 v[108:111], a[48:49], v[80:81], 0  // 000000002990: D3CD006C 0A02A130
	v_mfma_f32_16x16x16_f16 v[108:111], a[50:51], v[82:83], v[108:111]// 000000002998: D3CD006C 0DB2A532
	buffer_load_dwordx4 a[88:91], v27, s[16:19], 0 offen offset:2048// 0000000029A0: E05C1800 8084581B
	v_mfma_f32_16x16x16_f16 v[108:111], a[52:53], v[84:85], v[108:111]// 0000000029A8: D3CD006C 0DB2A934
	v_mfma_f32_16x16x16_f16 v[108:111], a[54:55], v[86:87], v[108:111]// 0000000029B0: D3CD006C 0DB2AD36
	v_mfma_f32_16x16x16_f16 v[108:111], a[56:57], v[88:89], v[108:111]// 0000000029B8: D3CD006C 0DB2B138
	v_mfma_f32_16x16x16_f16 v[108:111], a[58:59], v[90:91], v[108:111]// 0000000029C0: D3CD006C 0DB2B53A
	buffer_load_dwordx4 a[92:95], v27, s[16:19], 0 offen offset:3072// 0000000029C8: E05C1C00 80845C1B
	v_mfma_f32_16x16x16_f16 v[108:111], a[60:61], v[92:93], v[108:111]// 0000000029D0: D3CD006C 0DB2B93C
	v_mfma_f32_16x16x16_f16 v[108:111], a[62:63], v[94:95], v[108:111]// 0000000029D8: D3CD006C 0DB2BD3E
	buffer_load_dwordx4 a[96:99], v28, s[16:19], 0 offen       // 0000000029E0: E05C1000 8084601C
	s_nop 8                                                    // 0000000029E8: BF800008
	buffer_load_dwordx4 a[100:103], v28, s[16:19], 0 offen offset:1024// 0000000029EC: E05C1400 8084641C
	v_mov_b32_e32 v48, v96                                     // 0000000029F4: 7E600360
	v_max3_f32 v48, v96, v97, v48                              // 0000000029F8: D1D30030 04C2C360
	v_max3_f32 v48, v98, v99, v48                              // 000000002A00: D1D30030 04C2C762
	v_max3_f32 v48, v100, v101, v48                            // 000000002A08: D1D30030 04C2CB64
	v_max3_f32 v48, v102, v103, v48                            // 000000002A10: D1D30030 04C2CF66
	v_max3_f32 v48, v104, v105, v48                            // 000000002A18: D1D30030 04C2D368
	v_max3_f32 v48, v106, v107, v48                            // 000000002A20: D1D30030 04C2D76A
	v_max3_f32 v48, v108, v109, v48                            // 000000002A28: D1D30030 04C2DB6C
	v_max3_f32 v48, v110, v111, v48                            // 000000002A30: D1D30030 04C2DF6E
	ds_write_b32 v11, v48 offset:4224                          // 000000002A38: D81A1080 0000300B
	buffer_load_dwordx4 a[104:107], v28, s[16:19], 0 offen offset:2048// 000000002A40: E05C1800 8084681C
	s_waitcnt lgkmcnt(0)                                       // 000000002A48: BF8CC07F
	s_barrier                                                  // 000000002A4C: BF8A0000
	ds_read_b32 v64, v10 offset:4224                           // 000000002A50: D86C1080 4000000A
	buffer_load_dwordx4 a[108:111], v28, s[16:19], 0 offen offset:3072// 000000002A58: E05C1C00 80846C1C
	ds_read_b32 v65, v10 offset:4288                           // 000000002A60: D86C10C0 4100000A
	ds_read_b32 v66, v10 offset:4352                           // 000000002A68: D86C1100 4200000A
	ds_read_b32 v67, v10 offset:4416                           // 000000002A70: D86C1140 4300000A
	ds_read_b32 v68, v10 offset:4480                           // 000000002A78: D86C1180 4400000A
	ds_read_b32 v69, v10 offset:4544                           // 000000002A80: D86C11C0 4500000A
	ds_read_b32 v70, v10 offset:4608                           // 000000002A88: D86C1200 4600000A
	ds_read_b32 v71, v10 offset:4672                           // 000000002A90: D86C1240 4700000A
	ds_read_b32 v72, v10 offset:4736                           // 000000002A98: D86C1280 4800000A
	buffer_load_dwordx4 a[112:115], v29, s[16:19], 0 offen     // 000000002AA0: E05C1000 8084701D
	ds_read_b32 v73, v10 offset:4800                           // 000000002AA8: D86C12C0 4900000A
	ds_read_b32 v74, v10 offset:4864                           // 000000002AB0: D86C1300 4A00000A
	ds_read_b32 v75, v10 offset:4928                           // 000000002AB8: D86C1340 4B00000A
	ds_read_b32 v76, v10 offset:4992                           // 000000002AC0: D86C1380 4C00000A
	ds_read_b32 v77, v10 offset:5056                           // 000000002AC8: D86C13C0 4D00000A
	ds_read_b32 v78, v10 offset:5120                           // 000000002AD0: D86C1400 4E00000A
	ds_read_b32 v79, v10 offset:5184                           // 000000002AD8: D86C1440 4F00000A
	buffer_load_dwordx4 a[116:119], v29, s[16:19], 0 offen offset:1024// 000000002AE0: E05C1400 8084741D
	buffer_load_dwordx4 a[120:123], v29, s[16:19], 0 offen offset:2048// 000000002AE8: E05C1800 8084781D
	s_waitcnt lgkmcnt(0)                                       // 000000002AF0: BF8CC07F
	v_max3_f32 v48, v64, v65, v48                              // 000000002AF4: D1D30030 04C28340
	v_max3_f32 v48, v66, v67, v48                              // 000000002AFC: D1D30030 04C28742
	v_max3_f32 v48, v68, v69, v48                              // 000000002B04: D1D30030 04C28B44
	v_max3_f32 v48, v70, v71, v48                              // 000000002B0C: D1D30030 04C28F46
	v_max3_f32 v48, v72, v73, v48                              // 000000002B14: D1D30030 04C29348
	v_max3_f32 v48, v74, v75, v48                              // 000000002B1C: D1D30030 04C2974A
	v_max3_f32 v48, v76, v77, v48                              // 000000002B24: D1D30030 04C29B4C
	v_max3_f32 v48, v78, v79, v48                              // 000000002B2C: D1D30030 04C29F4E
	buffer_load_dwordx4 a[124:127], v29, s[16:19], 0 offen offset:3072// 000000002B34: E05C1C00 80847C1D
	v_cmp_eq_u32_e64 s[40:41], v52, v14                        // 000000002B3C: D0CA0028 00021D34
	s_nop 1                                                    // 000000002B44: BF800001
	v_max_f32_e32 v15, v48, v14                                // 000000002B48: 161E1D30
	v_sub_f32_e32 v49, v14, v15                                // 000000002B4C: 04621F0E
	v_cndmask_b32_e64 v49, v49, 0, s[40:41]                    // 000000002B50: D1000031 00A10131
	v_mov_b32_e32 v14, v15                                     // 000000002B58: 7E1C030F
	v_mul_f32_e32 v50, s64, v15                                // 000000002B5C: 0A641E40
	v_mul_f32_e32 v49, s64, v49                                // 000000002B60: 0A626240
	v_exp_f32_e32 v49, v49                                     // 000000002B64: 7E624131
	buffer_load_dwordx4 a[192:195], v144, s[20:23], 0 offen    // 000000002B68: E05C1000 8085C090
	v_fma_f32 v96, v96, s64, -v50                              // 000000002B70: D1CB0060 84C88160
	v_fma_f32 v97, v97, s64, -v50                              // 000000002B78: D1CB0061 84C88161
	v_fma_f32 v98, v98, s64, -v50                              // 000000002B80: D1CB0062 84C88162
	v_fma_f32 v99, v99, s64, -v50                              // 000000002B88: D1CB0063 84C88163
	v_fma_f32 v100, v100, s64, -v50                            // 000000002B90: D1CB0064 84C88164
	v_fma_f32 v101, v101, s64, -v50                            // 000000002B98: D1CB0065 84C88165
	v_fma_f32 v102, v102, s64, -v50                            // 000000002BA0: D1CB0066 84C88166
	v_fma_f32 v103, v103, s64, -v50                            // 000000002BA8: D1CB0067 84C88167
	v_fma_f32 v104, v104, s64, -v50                            // 000000002BB0: D1CB0068 84C88168
	v_fma_f32 v105, v105, s64, -v50                            // 000000002BB8: D1CB0069 84C88169
	v_fma_f32 v106, v106, s64, -v50                            // 000000002BC0: D1CB006A 84C8816A
	v_fma_f32 v107, v107, s64, -v50                            // 000000002BC8: D1CB006B 84C8816B
	v_fma_f32 v108, v108, s64, -v50                            // 000000002BD0: D1CB006C 84C8816C
	v_fma_f32 v109, v109, s64, -v50                            // 000000002BD8: D1CB006D 84C8816D
	v_fma_f32 v110, v110, s64, -v50                            // 000000002BE0: D1CB006E 84C8816E
	v_fma_f32 v111, v111, s64, -v50                            // 000000002BE8: D1CB006F 84C8816F
	v_exp_f32_e32 v96, v96                                     // 000000002BF0: 7EC04160
	v_exp_f32_e32 v97, v97                                     // 000000002BF4: 7EC24161
	v_exp_f32_e32 v98, v98                                     // 000000002BF8: 7EC44162
	v_exp_f32_e32 v99, v99                                     // 000000002BFC: 7EC64163
	v_exp_f32_e32 v100, v100                                   // 000000002C00: 7EC84164
	v_exp_f32_e32 v101, v101                                   // 000000002C04: 7ECA4165
	v_exp_f32_e32 v102, v102                                   // 000000002C08: 7ECC4166
	v_exp_f32_e32 v103, v103                                   // 000000002C0C: 7ECE4167
	v_exp_f32_e32 v104, v104                                   // 000000002C10: 7ED04168
	v_exp_f32_e32 v105, v105                                   // 000000002C14: 7ED24169
	v_exp_f32_e32 v106, v106                                   // 000000002C18: 7ED4416A
	v_exp_f32_e32 v107, v107                                   // 000000002C1C: 7ED6416B
	v_exp_f32_e32 v108, v108                                   // 000000002C20: 7ED8416C
	v_exp_f32_e32 v109, v109                                   // 000000002C24: 7EDA416D
	v_exp_f32_e32 v110, v110                                   // 000000002C28: 7EDC416E
	v_exp_f32_e32 v111, v111                                   // 000000002C2C: 7EDE416F
	buffer_load_dwordx4 a[196:199], v145, s[20:23], 0 offen    // 000000002C30: E05C1000 8085C491
	v_mul_f32_e32 v42, v49, v42                                // 000000002C38: 0A545531
	v_mov_b32_e32 v43, v96                                     // 000000002C3C: 7E560360
	v_add_f32_e32 v43, v97, v43                                // 000000002C40: 02565761
	v_add_f32_e32 v43, v98, v43                                // 000000002C44: 02565762
	v_add_f32_e32 v43, v99, v43                                // 000000002C48: 02565763
	v_add_f32_e32 v43, v100, v43                               // 000000002C4C: 02565764
	v_add_f32_e32 v43, v101, v43                               // 000000002C50: 02565765
	v_add_f32_e32 v43, v102, v43                               // 000000002C54: 02565766
	v_add_f32_e32 v43, v103, v43                               // 000000002C58: 02565767
	v_add_f32_e32 v43, v104, v43                               // 000000002C5C: 02565768
	v_add_f32_e32 v43, v105, v43                               // 000000002C60: 02565769
	v_add_f32_e32 v43, v106, v43                               // 000000002C64: 0256576A
	v_add_f32_e32 v43, v107, v43                               // 000000002C68: 0256576B
	v_add_f32_e32 v43, v108, v43                               // 000000002C6C: 0256576C
	v_add_f32_e32 v43, v109, v43                               // 000000002C70: 0256576D
	v_add_f32_e32 v43, v110, v43                               // 000000002C74: 0256576E
	v_add_f32_e32 v43, v111, v43                               // 000000002C78: 0256576F
	v_add_f32_e32 v42, v43, v42                                // 000000002C7C: 0254552B
	buffer_load_dwordx4 a[200:203], v146, s[20:23], 0 offen    // 000000002C80: E05C1000 8085C892
	v_cvt_pkrtz_f16_f32 v38, v96, v97                          // 000000002C88: D2960026 0002C360
	v_mov_b32_e32 v96, v38                                     // 000000002C90: 7EC00326
	v_cvt_pkrtz_f16_f32 v38, v98, v99                          // 000000002C94: D2960026 0002C762
	v_mov_b32_e32 v97, v38                                     // 000000002C9C: 7EC20326
	v_cvt_pkrtz_f16_f32 v38, v100, v101                        // 000000002CA0: D2960026 0002CB64
	v_mov_b32_e32 v98, v38                                     // 000000002CA8: 7EC40326
	v_cvt_pkrtz_f16_f32 v38, v102, v103                        // 000000002CAC: D2960026 0002CF66
	v_mov_b32_e32 v99, v38                                     // 000000002CB4: 7EC60326
	v_cvt_pkrtz_f16_f32 v38, v104, v105                        // 000000002CB8: D2960026 0002D368
	v_mov_b32_e32 v100, v38                                    // 000000002CC0: 7EC80326
	v_cvt_pkrtz_f16_f32 v38, v106, v107                        // 000000002CC4: D2960026 0002D76A
	v_mov_b32_e32 v101, v38                                    // 000000002CCC: 7ECA0326
	v_cvt_pkrtz_f16_f32 v38, v108, v109                        // 000000002CD0: D2960026 0002DB6C
	v_mov_b32_e32 v102, v38                                    // 000000002CD8: 7ECC0326
	v_cvt_pkrtz_f16_f32 v38, v110, v111                        // 000000002CDC: D2960026 0002DF6E
	v_mov_b32_e32 v103, v38                                    // 000000002CE4: 7ECE0326
	buffer_load_dwordx4 a[204:207], v147, s[20:23], 0 offen    // 000000002CE8: E05C1000 8085CC93
	buffer_load_dwordx4 a[208:211], v148, s[20:23], 0 offen    // 000000002CF0: E05C1000 8085D094
	ds_write_b64 v13, v[96:97] offset:5248                     // 000000002CF8: D89A1480 0000600D
	ds_write_b64 v13, v[98:99] offset:7296                     // 000000002D00: D89A1C80 0000620D
	ds_write_b64 v13, v[100:101] offset:9344                   // 000000002D08: D89A2480 0000640D
	ds_write_b64 v13, v[102:103] offset:11392                  // 000000002D10: D89A2C80 0000660D
	buffer_load_dwordx4 a[212:215], v149, s[20:23], 0 offen    // 000000002D18: E05C1000 8085D495
	s_waitcnt lgkmcnt(0)                                       // 000000002D20: BF8CC07F
	s_barrier                                                  // 000000002D24: BF8A0000
	ds_read_b64 v[96:97], v12 offset:5248                      // 000000002D28: D8EC1480 6000000C
	ds_read_b64 v[98:99], v12 offset:5376                      // 000000002D30: D8EC1500 6200000C
	ds_read_b64 v[100:101], v12 offset:6272                    // 000000002D38: D8EC1880 6400000C
	ds_read_b64 v[102:103], v12 offset:6400                    // 000000002D40: D8EC1900 6600000C
	ds_read_b64 v[104:105], v12 offset:7296                    // 000000002D48: D8EC1C80 6800000C
	ds_read_b64 v[106:107], v12 offset:7424                    // 000000002D50: D8EC1D00 6A00000C
	ds_read_b64 v[108:109], v12 offset:8320                    // 000000002D58: D8EC2080 6C00000C
	ds_read_b64 v[110:111], v12 offset:8448                    // 000000002D60: D8EC2100 6E00000C
	ds_read_b64 v[112:113], v12 offset:9344                    // 000000002D68: D8EC2480 7000000C
	ds_read_b64 v[114:115], v12 offset:9472                    // 000000002D70: D8EC2500 7200000C
	ds_read_b64 v[116:117], v12 offset:10368                   // 000000002D78: D8EC2880 7400000C
	ds_read_b64 v[118:119], v12 offset:10496                   // 000000002D80: D8EC2900 7600000C
	ds_read_b64 v[120:121], v12 offset:11392                   // 000000002D88: D8EC2C80 7800000C
	ds_read_b64 v[122:123], v12 offset:11520                   // 000000002D90: D8EC2D00 7A00000C
	ds_read_b64 v[124:125], v12 offset:12416                   // 000000002D98: D8EC3080 7C00000C
	ds_read_b64 v[126:127], v12 offset:12544                   // 000000002DA0: D8EC3100 7E00000C
	buffer_load_dwordx4 a[216:219], v150, s[20:23], 0 offen    // 000000002DA8: E05C1000 8085D896
	buffer_load_dwordx4 a[220:223], v151, s[20:23], 0 offen    // 000000002DB0: E05C1000 8085DC97
	s_waitcnt lgkmcnt(0)                                       // 000000002DB8: BF8CC07F
	v_mul_f32_e32 v128, v49, v128                              // 000000002DBC: 0B010131
	v_mul_f32_e32 v129, v49, v129                              // 000000002DC0: 0B030331
	v_mul_f32_e32 v130, v49, v130                              // 000000002DC4: 0B050531
	v_mul_f32_e32 v131, v49, v131                              // 000000002DC8: 0B070731
	v_mul_f32_e32 v132, v49, v132                              // 000000002DCC: 0B090931
	v_mul_f32_e32 v133, v49, v133                              // 000000002DD0: 0B0B0B31
	v_mul_f32_e32 v134, v49, v134                              // 000000002DD4: 0B0D0D31
	v_mul_f32_e32 v135, v49, v135                              // 000000002DD8: 0B0F0F31
	s_waitcnt vmcnt(24)                                        // 000000002DDC: BF8C4F78
	v_mfma_f32_16x16x16_f16 v[128:131], a[128:129], v[96:97], v[128:131]// 000000002DE0: D3CD0080 0E02C180
	v_mfma_f32_16x16x16_f16 v[128:131], a[130:131], v[98:99], v[128:131]// 000000002DE8: D3CD0080 0E02C582
	buffer_load_dwordx4 a[224:227], v144, s[20:23], 0 offen offset:1024// 000000002DF0: E05C1400 8085E090
	v_mfma_f32_16x16x16_f16 v[128:131], a[132:133], v[100:101], v[128:131]// 000000002DF8: D3CD0080 0E02C984
	v_mfma_f32_16x16x16_f16 v[128:131], a[134:135], v[102:103], v[128:131]// 000000002E00: D3CD0080 0E02CD86
	v_mfma_f32_16x16x16_f16 v[128:131], a[136:137], v[104:105], v[128:131]// 000000002E08: D3CD0080 0E02D188
	v_mfma_f32_16x16x16_f16 v[128:131], a[138:139], v[106:107], v[128:131]// 000000002E10: D3CD0080 0E02D58A
	buffer_load_dwordx4 a[228:231], v145, s[20:23], 0 offen offset:1024// 000000002E18: E05C1400 8085E491
	v_mfma_f32_16x16x16_f16 v[128:131], a[140:141], v[108:109], v[128:131]// 000000002E20: D3CD0080 0E02D98C
	v_mfma_f32_16x16x16_f16 v[128:131], a[142:143], v[110:111], v[128:131]// 000000002E28: D3CD0080 0E02DD8E
	v_mfma_f32_16x16x16_f16 v[128:131], a[144:145], v[112:113], v[128:131]// 000000002E30: D3CD0080 0E02E190
	v_mfma_f32_16x16x16_f16 v[128:131], a[146:147], v[114:115], v[128:131]// 000000002E38: D3CD0080 0E02E592
	buffer_load_dwordx4 a[232:235], v146, s[20:23], 0 offen offset:1024// 000000002E40: E05C1400 8085E892
	v_mfma_f32_16x16x16_f16 v[128:131], a[148:149], v[116:117], v[128:131]// 000000002E48: D3CD0080 0E02E994
	v_mfma_f32_16x16x16_f16 v[128:131], a[150:151], v[118:119], v[128:131]// 000000002E50: D3CD0080 0E02ED96
	v_mfma_f32_16x16x16_f16 v[128:131], a[152:153], v[120:121], v[128:131]// 000000002E58: D3CD0080 0E02F198
	v_mfma_f32_16x16x16_f16 v[128:131], a[154:155], v[122:123], v[128:131]// 000000002E60: D3CD0080 0E02F59A
	buffer_load_dwordx4 a[236:239], v147, s[20:23], 0 offen offset:1024// 000000002E68: E05C1400 8085EC93
	v_mfma_f32_16x16x16_f16 v[128:131], a[156:157], v[124:125], v[128:131]// 000000002E70: D3CD0080 0E02F99C
	v_mfma_f32_16x16x16_f16 v[128:131], a[158:159], v[126:127], v[128:131]// 000000002E78: D3CD0080 0E02FD9E
	v_mfma_f32_16x16x16_f16 v[132:135], a[160:161], v[96:97], v[132:135]// 000000002E80: D3CD0084 0E12C1A0
	v_mfma_f32_16x16x16_f16 v[132:135], a[162:163], v[98:99], v[132:135]// 000000002E88: D3CD0084 0E12C5A2
	buffer_load_dwordx4 a[240:243], v148, s[20:23], 0 offen offset:1024// 000000002E90: E05C1400 8085F094
	v_mfma_f32_16x16x16_f16 v[132:135], a[164:165], v[100:101], v[132:135]// 000000002E98: D3CD0084 0E12C9A4
	v_mfma_f32_16x16x16_f16 v[132:135], a[166:167], v[102:103], v[132:135]// 000000002EA0: D3CD0084 0E12CDA6
	v_mfma_f32_16x16x16_f16 v[132:135], a[168:169], v[104:105], v[132:135]// 000000002EA8: D3CD0084 0E12D1A8
	v_mfma_f32_16x16x16_f16 v[132:135], a[170:171], v[106:107], v[132:135]// 000000002EB0: D3CD0084 0E12D5AA
	buffer_load_dwordx4 a[244:247], v149, s[20:23], 0 offen offset:1024// 000000002EB8: E05C1400 8085F495
	v_mfma_f32_16x16x16_f16 v[132:135], a[172:173], v[108:109], v[132:135]// 000000002EC0: D3CD0084 0E12D9AC
	v_mfma_f32_16x16x16_f16 v[132:135], a[174:175], v[110:111], v[132:135]// 000000002EC8: D3CD0084 0E12DDAE
	v_mfma_f32_16x16x16_f16 v[132:135], a[176:177], v[112:113], v[132:135]// 000000002ED0: D3CD0084 0E12E1B0
	v_mfma_f32_16x16x16_f16 v[132:135], a[178:179], v[114:115], v[132:135]// 000000002ED8: D3CD0084 0E12E5B2
	buffer_load_dwordx4 a[248:251], v150, s[20:23], 0 offen offset:1024// 000000002EE0: E05C1400 8085F896
	v_mfma_f32_16x16x16_f16 v[132:135], a[180:181], v[116:117], v[132:135]// 000000002EE8: D3CD0084 0E12E9B4
	v_mfma_f32_16x16x16_f16 v[132:135], a[182:183], v[118:119], v[132:135]// 000000002EF0: D3CD0084 0E12EDB6
	v_mfma_f32_16x16x16_f16 v[132:135], a[184:185], v[120:121], v[132:135]// 000000002EF8: D3CD0084 0E12F1B8
	v_mfma_f32_16x16x16_f16 v[132:135], a[186:187], v[122:123], v[132:135]// 000000002F00: D3CD0084 0E12F5BA
	buffer_load_dwordx4 a[252:255], v151, s[20:23], 0 offen offset:1024// 000000002F08: E05C1400 8085FC97
	v_mfma_f32_16x16x16_f16 v[132:135], a[188:189], v[124:125], v[132:135]// 000000002F10: D3CD0084 0E12F9BC
	v_mfma_f32_16x16x16_f16 v[132:135], a[190:191], v[126:127], v[132:135]// 000000002F18: D3CD0084 0E12FDBE
	s_lshr_b32 s60, s70, 4                                     // 000000002F20: 8F3C8446
	s_add_u32 s60, 48, s60                                     // 000000002F24: 803C3CB0
	s_cmp_ge_u32 s60, s73                                      // 000000002F28: BF09493C
	s_cselect_b32 s56, 0, s56                                  // 000000002F2C: 85383880
	v_mul_u32_u24_dpp v38, v16, v51 row_newbcast:0 row_mask:0xf bank_mask:0xf// 000000002F30: 104C66FA FF015010
	v_mul_u32_u24_dpp v39, v16, v51 row_newbcast:4 row_mask:0xf bank_mask:0xf// 000000002F38: 104E66FA FF015410
	v_mul_u32_u24_dpp v40, v16, v51 row_newbcast:8 row_mask:0xf bank_mask:0xf// 000000002F40: 105066FA FF015810
	v_mul_u32_u24_dpp v41, v16, v51 row_newbcast:12 row_mask:0xf bank_mask:0xf// 000000002F48: 105266FA FF015C10
	v_add_u32_e32 v22, v38, v6                                 // 000000002F50: 682C0D26
	v_add_u32_e32 v23, v39, v6                                 // 000000002F54: 682E0D27
	v_add_u32_e32 v24, v40, v6                                 // 000000002F58: 68300D28
	v_add_u32_e32 v25, v41, v6                                 // 000000002F5C: 68320D29
	v_mul_u32_u24_dpp v38, v16, v51 row_newbcast:1 row_mask:0xf bank_mask:0xf// 000000002F60: 104C66FA FF015110
	v_mul_u32_u24_dpp v39, v16, v51 row_newbcast:2 row_mask:0xf bank_mask:0xf// 000000002F68: 104E66FA FF015210
	v_mul_u32_u24_dpp v40, v16, v51 row_newbcast:5 row_mask:0xf bank_mask:0xf// 000000002F70: 105066FA FF015510
	v_mul_u32_u24_dpp v41, v16, v51 row_newbcast:6 row_mask:0xf bank_mask:0xf// 000000002F78: 105266FA FF015610
	v_add_u32_e32 v136, v38, v7                                // 000000002F80: 69100F26
	v_add_u32_e32 v137, v39, v7                                // 000000002F84: 69120F27
	v_add_u32_e32 v138, v40, v7                                // 000000002F88: 69140F28
	v_add_u32_e32 v139, v41, v7                                // 000000002F8C: 69160F29
	v_mul_u32_u24_dpp v38, v16, v51 row_newbcast:9 row_mask:0xf bank_mask:0xf// 000000002F90: 104C66FA FF015910
	v_mul_u32_u24_dpp v39, v16, v51 row_newbcast:10 row_mask:0xf bank_mask:0xf// 000000002F98: 104E66FA FF015A10
	v_mul_u32_u24_dpp v40, v16, v51 row_newbcast:13 row_mask:0xf bank_mask:0xf// 000000002FA0: 105066FA FF015D10
	v_mul_u32_u24_dpp v41, v16, v51 row_newbcast:7 row_mask:0xf bank_mask:0xf// 000000002FA8: 105266FA FF015710
	v_add_u32_e32 v140, v38, v7                                // 000000002FB0: 69180F26
	v_add_u32_e32 v141, v39, v7                                // 000000002FB4: 691A0F27
	v_add_u32_e32 v142, v40, v7                                // 000000002FB8: 691C0F28
	v_add_u32_e32 v143, v41, v7                                // 000000002FBC: 691E0F29
	v_add_u32_e32 v1, s56, v1                                  // 000000002FC0: 68020238
	s_addk_i32 s70, 0x100                                      // 000000002FC4: B7460100
	s_cmp_lt_i32 s70, s71                                      // 000000002FC8: BF044746
	s_cbranch_scc0 label_0544                                  // 000000002FCC: BF8401D0
	s_waitcnt vmcnt(16) lgkmcnt(0)                             // 000000002FD0: BF8C4070
	v_mfma_f32_16x16x16_f16 v[96:99], a[64:65], v[80:81], 0    // 000000002FD4: D3CD0060 0A02A140
	v_mfma_f32_16x16x16_f16 v[96:99], a[66:67], v[82:83], v[96:99]// 000000002FDC: D3CD0060 0D82A542
	buffer_load_dwordx4 a[0:3], v22, s[16:19], 0 offen         // 000000002FE4: E05C1000 80840016
	v_mfma_f32_16x16x16_f16 v[96:99], a[68:69], v[84:85], v[96:99]// 000000002FEC: D3CD0060 0D82A944
	v_mfma_f32_16x16x16_f16 v[96:99], a[70:71], v[86:87], v[96:99]// 000000002FF4: D3CD0060 0D82AD46
	buffer_load_dword v17, v1, s[24:27], 0 offen               // 000000002FFC: E0501000 80061101
	v_mfma_f32_16x16x16_f16 v[96:99], a[72:73], v[88:89], v[96:99]// 000000003004: D3CD0060 0D82B148
	v_mfma_f32_16x16x16_f16 v[96:99], a[74:75], v[90:91], v[96:99]// 00000000300C: D3CD0060 0D82B54A
	buffer_load_dwordx4 a[4:7], v22, s[16:19], 0 offen offset:1024// 000000003014: E05C1400 80840416
	v_mfma_f32_16x16x16_f16 v[96:99], a[76:77], v[92:93], v[96:99]// 00000000301C: D3CD0060 0D82B94C
	v_mfma_f32_16x16x16_f16 v[96:99], a[78:79], v[94:95], v[96:99]// 000000003024: D3CD0060 0D82BD4E
	v_mfma_f32_16x16x16_f16 v[100:103], a[80:81], v[80:81], 0  // 00000000302C: D3CD0064 0A02A150
	v_mfma_f32_16x16x16_f16 v[100:103], a[82:83], v[82:83], v[100:103]// 000000003034: D3CD0064 0D92A552
	buffer_load_dwordx4 a[8:11], v22, s[16:19], 0 offen offset:2048// 00000000303C: E05C1800 80840816
	v_mfma_f32_16x16x16_f16 v[100:103], a[84:85], v[84:85], v[100:103]// 000000003044: D3CD0064 0D92A954
	v_mfma_f32_16x16x16_f16 v[100:103], a[86:87], v[86:87], v[100:103]// 00000000304C: D3CD0064 0D92AD56
	v_mfma_f32_16x16x16_f16 v[100:103], a[88:89], v[88:89], v[100:103]// 000000003054: D3CD0064 0D92B158
	v_mfma_f32_16x16x16_f16 v[100:103], a[90:91], v[90:91], v[100:103]// 00000000305C: D3CD0064 0D92B55A
	buffer_load_dwordx4 a[12:15], v22, s[16:19], 0 offen offset:3072// 000000003064: E05C1C00 80840C16
	v_mfma_f32_16x16x16_f16 v[100:103], a[92:93], v[92:93], v[100:103]// 00000000306C: D3CD0064 0D92B95C
	v_mfma_f32_16x16x16_f16 v[100:103], a[94:95], v[94:95], v[100:103]// 000000003074: D3CD0064 0D92BD5E
	v_mfma_f32_16x16x16_f16 v[104:107], a[96:97], v[80:81], 0  // 00000000307C: D3CD0068 0A02A160
	v_mfma_f32_16x16x16_f16 v[104:107], a[98:99], v[82:83], v[104:107]// 000000003084: D3CD0068 0DA2A562
	buffer_load_dwordx4 a[16:19], v23, s[16:19], 0 offen       // 00000000308C: E05C1000 80841017
	v_mfma_f32_16x16x16_f16 v[104:107], a[100:101], v[84:85], v[104:107]// 000000003094: D3CD0068 0DA2A964
	v_mfma_f32_16x16x16_f16 v[104:107], a[102:103], v[86:87], v[104:107]// 00000000309C: D3CD0068 0DA2AD66
	v_mfma_f32_16x16x16_f16 v[104:107], a[104:105], v[88:89], v[104:107]// 0000000030A4: D3CD0068 0DA2B168
	v_mfma_f32_16x16x16_f16 v[104:107], a[106:107], v[90:91], v[104:107]// 0000000030AC: D3CD0068 0DA2B56A
	buffer_load_dwordx4 a[20:23], v23, s[16:19], 0 offen offset:1024// 0000000030B4: E05C1400 80841417
	v_mfma_f32_16x16x16_f16 v[104:107], a[108:109], v[92:93], v[104:107]// 0000000030BC: D3CD0068 0DA2B96C
	v_mfma_f32_16x16x16_f16 v[104:107], a[110:111], v[94:95], v[104:107]// 0000000030C4: D3CD0068 0DA2BD6E
	v_mfma_f32_16x16x16_f16 v[108:111], a[112:113], v[80:81], 0// 0000000030CC: D3CD006C 0A02A170
	v_mfma_f32_16x16x16_f16 v[108:111], a[114:115], v[82:83], v[108:111]// 0000000030D4: D3CD006C 0DB2A572
	buffer_load_dwordx4 a[24:27], v23, s[16:19], 0 offen offset:2048// 0000000030DC: E05C1800 80841817
	v_mfma_f32_16x16x16_f16 v[108:111], a[116:117], v[84:85], v[108:111]// 0000000030E4: D3CD006C 0DB2A974
	v_mfma_f32_16x16x16_f16 v[108:111], a[118:119], v[86:87], v[108:111]// 0000000030EC: D3CD006C 0DB2AD76
	v_mfma_f32_16x16x16_f16 v[108:111], a[120:121], v[88:89], v[108:111]// 0000000030F4: D3CD006C 0DB2B178
	v_mfma_f32_16x16x16_f16 v[108:111], a[122:123], v[90:91], v[108:111]// 0000000030FC: D3CD006C 0DB2B57A
	buffer_load_dwordx4 a[28:31], v23, s[16:19], 0 offen offset:3072// 000000003104: E05C1C00 80841C17
	v_mfma_f32_16x16x16_f16 v[108:111], a[124:125], v[92:93], v[108:111]// 00000000310C: D3CD006C 0DB2B97C
	v_mfma_f32_16x16x16_f16 v[108:111], a[126:127], v[94:95], v[108:111]// 000000003114: D3CD006C 0DB2BD7E
	buffer_load_dwordx4 a[32:35], v24, s[16:19], 0 offen       // 00000000311C: E05C1000 80842018
	s_nop 8                                                    // 000000003124: BF800008
	buffer_load_dwordx4 a[36:39], v24, s[16:19], 0 offen offset:1024// 000000003128: E05C1400 80842418
	v_mov_b32_e32 v48, v96                                     // 000000003130: 7E600360
	v_max3_f32 v48, v96, v97, v48                              // 000000003134: D1D30030 04C2C360
	v_max3_f32 v48, v98, v99, v48                              // 00000000313C: D1D30030 04C2C762
	v_max3_f32 v48, v100, v101, v48                            // 000000003144: D1D30030 04C2CB64
	v_max3_f32 v48, v102, v103, v48                            // 00000000314C: D1D30030 04C2CF66
	v_max3_f32 v48, v104, v105, v48                            // 000000003154: D1D30030 04C2D368
	v_max3_f32 v48, v106, v107, v48                            // 00000000315C: D1D30030 04C2D76A
	v_max3_f32 v48, v108, v109, v48                            // 000000003164: D1D30030 04C2DB6C
	v_max3_f32 v48, v110, v111, v48                            // 00000000316C: D1D30030 04C2DF6E
	ds_write_b32 v11, v48 offset:4224                          // 000000003174: D81A1080 0000300B
	buffer_load_dwordx4 a[40:43], v24, s[16:19], 0 offen offset:2048// 00000000317C: E05C1800 80842818
	s_waitcnt lgkmcnt(0)                                       // 000000003184: BF8CC07F
	s_barrier                                                  // 000000003188: BF8A0000
	ds_read_b32 v64, v10 offset:4224                           // 00000000318C: D86C1080 4000000A
	buffer_load_dwordx4 a[44:47], v24, s[16:19], 0 offen offset:3072// 000000003194: E05C1C00 80842C18
	ds_read_b32 v65, v10 offset:4288                           // 00000000319C: D86C10C0 4100000A
	ds_read_b32 v66, v10 offset:4352                           // 0000000031A4: D86C1100 4200000A
	ds_read_b32 v67, v10 offset:4416                           // 0000000031AC: D86C1140 4300000A
	ds_read_b32 v68, v10 offset:4480                           // 0000000031B4: D86C1180 4400000A
	ds_read_b32 v69, v10 offset:4544                           // 0000000031BC: D86C11C0 4500000A
	ds_read_b32 v70, v10 offset:4608                           // 0000000031C4: D86C1200 4600000A
	ds_read_b32 v71, v10 offset:4672                           // 0000000031CC: D86C1240 4700000A
	ds_read_b32 v72, v10 offset:4736                           // 0000000031D4: D86C1280 4800000A
	buffer_load_dwordx4 a[48:51], v25, s[16:19], 0 offen       // 0000000031DC: E05C1000 80843019
	ds_read_b32 v73, v10 offset:4800                           // 0000000031E4: D86C12C0 4900000A
	ds_read_b32 v74, v10 offset:4864                           // 0000000031EC: D86C1300 4A00000A
	ds_read_b32 v75, v10 offset:4928                           // 0000000031F4: D86C1340 4B00000A
	ds_read_b32 v76, v10 offset:4992                           // 0000000031FC: D86C1380 4C00000A
	ds_read_b32 v77, v10 offset:5056                           // 000000003204: D86C13C0 4D00000A
	ds_read_b32 v78, v10 offset:5120                           // 00000000320C: D86C1400 4E00000A
	ds_read_b32 v79, v10 offset:5184                           // 000000003214: D86C1440 4F00000A
	buffer_load_dwordx4 a[52:55], v25, s[16:19], 0 offen offset:1024// 00000000321C: E05C1400 80843419
	buffer_load_dwordx4 a[56:59], v25, s[16:19], 0 offen offset:2048// 000000003224: E05C1800 80843819
	s_waitcnt lgkmcnt(0)                                       // 00000000322C: BF8CC07F
	v_max3_f32 v48, v64, v65, v48                              // 000000003230: D1D30030 04C28340
	v_max3_f32 v48, v66, v67, v48                              // 000000003238: D1D30030 04C28742
	v_max3_f32 v48, v68, v69, v48                              // 000000003240: D1D30030 04C28B44
	v_max3_f32 v48, v70, v71, v48                              // 000000003248: D1D30030 04C28F46
	v_max3_f32 v48, v72, v73, v48                              // 000000003250: D1D30030 04C29348
	v_max3_f32 v48, v74, v75, v48                              // 000000003258: D1D30030 04C2974A
	v_max3_f32 v48, v76, v77, v48                              // 000000003260: D1D30030 04C29B4C
	v_max3_f32 v48, v78, v79, v48                              // 000000003268: D1D30030 04C29F4E
	buffer_load_dwordx4 a[60:63], v25, s[16:19], 0 offen offset:3072// 000000003270: E05C1C00 80843C19
	v_cmp_eq_u32_e64 s[40:41], v52, v14                        // 000000003278: D0CA0028 00021D34
	s_nop 1                                                    // 000000003280: BF800001
	v_max_f32_e32 v15, v48, v14                                // 000000003284: 161E1D30
	v_sub_f32_e32 v49, v14, v15                                // 000000003288: 04621F0E
	v_cndmask_b32_e64 v49, v49, 0, s[40:41]                    // 00000000328C: D1000031 00A10131
	v_mov_b32_e32 v14, v15                                     // 000000003294: 7E1C030F
	v_mul_f32_e32 v50, s64, v15                                // 000000003298: 0A641E40
	v_mul_f32_e32 v49, s64, v49                                // 00000000329C: 0A626240
	v_exp_f32_e32 v49, v49                                     // 0000000032A0: 7E624131
	buffer_load_dwordx4 a[128:131], v136, s[20:23], 0 offen    // 0000000032A4: E05C1000 80858088
	v_fma_f32 v96, v96, s64, -v50                              // 0000000032AC: D1CB0060 84C88160
	v_fma_f32 v97, v97, s64, -v50                              // 0000000032B4: D1CB0061 84C88161
	v_fma_f32 v98, v98, s64, -v50                              // 0000000032BC: D1CB0062 84C88162
	v_fma_f32 v99, v99, s64, -v50                              // 0000000032C4: D1CB0063 84C88163
	v_fma_f32 v100, v100, s64, -v50                            // 0000000032CC: D1CB0064 84C88164
	v_fma_f32 v101, v101, s64, -v50                            // 0000000032D4: D1CB0065 84C88165
	v_fma_f32 v102, v102, s64, -v50                            // 0000000032DC: D1CB0066 84C88166
	v_fma_f32 v103, v103, s64, -v50                            // 0000000032E4: D1CB0067 84C88167
	v_fma_f32 v104, v104, s64, -v50                            // 0000000032EC: D1CB0068 84C88168
	v_fma_f32 v105, v105, s64, -v50                            // 0000000032F4: D1CB0069 84C88169
	v_fma_f32 v106, v106, s64, -v50                            // 0000000032FC: D1CB006A 84C8816A
	v_fma_f32 v107, v107, s64, -v50                            // 000000003304: D1CB006B 84C8816B
	v_fma_f32 v108, v108, s64, -v50                            // 00000000330C: D1CB006C 84C8816C
	v_fma_f32 v109, v109, s64, -v50                            // 000000003314: D1CB006D 84C8816D
	v_fma_f32 v110, v110, s64, -v50                            // 00000000331C: D1CB006E 84C8816E
	v_fma_f32 v111, v111, s64, -v50                            // 000000003324: D1CB006F 84C8816F
	v_exp_f32_e32 v96, v96                                     // 00000000332C: 7EC04160
	v_exp_f32_e32 v97, v97                                     // 000000003330: 7EC24161
	v_exp_f32_e32 v98, v98                                     // 000000003334: 7EC44162
	v_exp_f32_e32 v99, v99                                     // 000000003338: 7EC64163
	v_exp_f32_e32 v100, v100                                   // 00000000333C: 7EC84164
	v_exp_f32_e32 v101, v101                                   // 000000003340: 7ECA4165
	v_exp_f32_e32 v102, v102                                   // 000000003344: 7ECC4166
	v_exp_f32_e32 v103, v103                                   // 000000003348: 7ECE4167
	v_exp_f32_e32 v104, v104                                   // 00000000334C: 7ED04168
	v_exp_f32_e32 v105, v105                                   // 000000003350: 7ED24169
	v_exp_f32_e32 v106, v106                                   // 000000003354: 7ED4416A
	v_exp_f32_e32 v107, v107                                   // 000000003358: 7ED6416B
	v_exp_f32_e32 v108, v108                                   // 00000000335C: 7ED8416C
	v_exp_f32_e32 v109, v109                                   // 000000003360: 7EDA416D
	v_exp_f32_e32 v110, v110                                   // 000000003364: 7EDC416E
	v_exp_f32_e32 v111, v111                                   // 000000003368: 7EDE416F
	buffer_load_dwordx4 a[132:135], v137, s[20:23], 0 offen    // 00000000336C: E05C1000 80858489
	v_mul_f32_e32 v42, v49, v42                                // 000000003374: 0A545531
	v_mov_b32_e32 v43, v96                                     // 000000003378: 7E560360
	v_add_f32_e32 v43, v97, v43                                // 00000000337C: 02565761
	v_add_f32_e32 v43, v98, v43                                // 000000003380: 02565762
	v_add_f32_e32 v43, v99, v43                                // 000000003384: 02565763
	v_add_f32_e32 v43, v100, v43                               // 000000003388: 02565764
	v_add_f32_e32 v43, v101, v43                               // 00000000338C: 02565765
	v_add_f32_e32 v43, v102, v43                               // 000000003390: 02565766
	v_add_f32_e32 v43, v103, v43                               // 000000003394: 02565767
	;; [unrolled: 1-line block ×3, first 2 shown]
	v_add_f32_e32 v43, v105, v43                               // 00000000339C: 02565769
	v_add_f32_e32 v43, v106, v43                               // 0000000033A0: 0256576A
	v_add_f32_e32 v43, v107, v43                               // 0000000033A4: 0256576B
	v_add_f32_e32 v43, v108, v43                               // 0000000033A8: 0256576C
	v_add_f32_e32 v43, v109, v43                               // 0000000033AC: 0256576D
	v_add_f32_e32 v43, v110, v43                               // 0000000033B0: 0256576E
	v_add_f32_e32 v43, v111, v43                               // 0000000033B4: 0256576F
	v_add_f32_e32 v42, v43, v42                                // 0000000033B8: 0254552B
	buffer_load_dwordx4 a[136:139], v138, s[20:23], 0 offen    // 0000000033BC: E05C1000 8085888A
	v_cvt_pkrtz_f16_f32 v38, v96, v97                          // 0000000033C4: D2960026 0002C360
	v_mov_b32_e32 v96, v38                                     // 0000000033CC: 7EC00326
	v_cvt_pkrtz_f16_f32 v38, v98, v99                          // 0000000033D0: D2960026 0002C762
	v_mov_b32_e32 v97, v38                                     // 0000000033D8: 7EC20326
	v_cvt_pkrtz_f16_f32 v38, v100, v101                        // 0000000033DC: D2960026 0002CB64
	v_mov_b32_e32 v98, v38                                     // 0000000033E4: 7EC40326
	v_cvt_pkrtz_f16_f32 v38, v102, v103                        // 0000000033E8: D2960026 0002CF66
	v_mov_b32_e32 v99, v38                                     // 0000000033F0: 7EC60326
	v_cvt_pkrtz_f16_f32 v38, v104, v105                        // 0000000033F4: D2960026 0002D368
	v_mov_b32_e32 v100, v38                                    // 0000000033FC: 7EC80326
	v_cvt_pkrtz_f16_f32 v38, v106, v107                        // 000000003400: D2960026 0002D76A
	v_mov_b32_e32 v101, v38                                    // 000000003408: 7ECA0326
	v_cvt_pkrtz_f16_f32 v38, v108, v109                        // 00000000340C: D2960026 0002DB6C
	v_mov_b32_e32 v102, v38                                    // 000000003414: 7ECC0326
	v_cvt_pkrtz_f16_f32 v38, v110, v111                        // 000000003418: D2960026 0002DF6E
	v_mov_b32_e32 v103, v38                                    // 000000003420: 7ECE0326
	buffer_load_dwordx4 a[140:143], v139, s[20:23], 0 offen    // 000000003424: E05C1000 80858C8B
	buffer_load_dwordx4 a[144:147], v140, s[20:23], 0 offen    // 00000000342C: E05C1000 8085908C
	ds_write_b64 v13, v[96:97] offset:5248                     // 000000003434: D89A1480 0000600D
	ds_write_b64 v13, v[98:99] offset:7296                     // 00000000343C: D89A1C80 0000620D
	ds_write_b64 v13, v[100:101] offset:9344                   // 000000003444: D89A2480 0000640D
	ds_write_b64 v13, v[102:103] offset:11392                  // 00000000344C: D89A2C80 0000660D
	buffer_load_dwordx4 a[148:151], v141, s[20:23], 0 offen    // 000000003454: E05C1000 8085948D
	s_waitcnt lgkmcnt(0)                                       // 00000000345C: BF8CC07F
	s_barrier                                                  // 000000003460: BF8A0000
	ds_read_b64 v[96:97], v12 offset:5248                      // 000000003464: D8EC1480 6000000C
	ds_read_b64 v[98:99], v12 offset:5376                      // 00000000346C: D8EC1500 6200000C
	ds_read_b64 v[100:101], v12 offset:6272                    // 000000003474: D8EC1880 6400000C
	ds_read_b64 v[102:103], v12 offset:6400                    // 00000000347C: D8EC1900 6600000C
	ds_read_b64 v[104:105], v12 offset:7296                    // 000000003484: D8EC1C80 6800000C
	ds_read_b64 v[106:107], v12 offset:7424                    // 00000000348C: D8EC1D00 6A00000C
	ds_read_b64 v[108:109], v12 offset:8320                    // 000000003494: D8EC2080 6C00000C
	ds_read_b64 v[110:111], v12 offset:8448                    // 00000000349C: D8EC2100 6E00000C
	ds_read_b64 v[112:113], v12 offset:9344                    // 0000000034A4: D8EC2480 7000000C
	ds_read_b64 v[114:115], v12 offset:9472                    // 0000000034AC: D8EC2500 7200000C
	ds_read_b64 v[116:117], v12 offset:10368                   // 0000000034B4: D8EC2880 7400000C
	ds_read_b64 v[118:119], v12 offset:10496                   // 0000000034BC: D8EC2900 7600000C
	ds_read_b64 v[120:121], v12 offset:11392                   // 0000000034C4: D8EC2C80 7800000C
	ds_read_b64 v[122:123], v12 offset:11520                   // 0000000034CC: D8EC2D00 7A00000C
	ds_read_b64 v[124:125], v12 offset:12416                   // 0000000034D4: D8EC3080 7C00000C
	ds_read_b64 v[126:127], v12 offset:12544                   // 0000000034DC: D8EC3100 7E00000C
	buffer_load_dwordx4 a[152:155], v142, s[20:23], 0 offen    // 0000000034E4: E05C1000 8085988E
	buffer_load_dwordx4 a[156:159], v143, s[20:23], 0 offen    // 0000000034EC: E05C1000 80859C8F
	s_waitcnt lgkmcnt(0)                                       // 0000000034F4: BF8CC07F
	v_mul_f32_e32 v128, v49, v128                              // 0000000034F8: 0B010131
	v_mul_f32_e32 v129, v49, v129                              // 0000000034FC: 0B030331
	v_mul_f32_e32 v130, v49, v130                              // 000000003500: 0B050531
	v_mul_f32_e32 v131, v49, v131                              // 000000003504: 0B070731
	v_mul_f32_e32 v132, v49, v132                              // 000000003508: 0B090931
	v_mul_f32_e32 v133, v49, v133                              // 00000000350C: 0B0B0B31
	v_mul_f32_e32 v134, v49, v134                              // 000000003510: 0B0D0D31
	v_mul_f32_e32 v135, v49, v135                              // 000000003514: 0B0F0F31
	s_waitcnt vmcnt(24)                                        // 000000003518: BF8C4F78
	v_mfma_f32_16x16x16_f16 v[128:131], a[192:193], v[96:97], v[128:131]// 00000000351C: D3CD0080 0E02C1C0
	v_mfma_f32_16x16x16_f16 v[128:131], a[194:195], v[98:99], v[128:131]// 000000003524: D3CD0080 0E02C5C2
	buffer_load_dwordx4 a[160:163], v136, s[20:23], 0 offen offset:1024// 00000000352C: E05C1400 8085A088
	v_mfma_f32_16x16x16_f16 v[128:131], a[196:197], v[100:101], v[128:131]// 000000003534: D3CD0080 0E02C9C4
	v_mfma_f32_16x16x16_f16 v[128:131], a[198:199], v[102:103], v[128:131]// 00000000353C: D3CD0080 0E02CDC6
	v_mfma_f32_16x16x16_f16 v[128:131], a[200:201], v[104:105], v[128:131]// 000000003544: D3CD0080 0E02D1C8
	v_mfma_f32_16x16x16_f16 v[128:131], a[202:203], v[106:107], v[128:131]// 00000000354C: D3CD0080 0E02D5CA
	buffer_load_dwordx4 a[164:167], v137, s[20:23], 0 offen offset:1024// 000000003554: E05C1400 8085A489
	v_mfma_f32_16x16x16_f16 v[128:131], a[204:205], v[108:109], v[128:131]// 00000000355C: D3CD0080 0E02D9CC
	v_mfma_f32_16x16x16_f16 v[128:131], a[206:207], v[110:111], v[128:131]// 000000003564: D3CD0080 0E02DDCE
	v_mfma_f32_16x16x16_f16 v[128:131], a[208:209], v[112:113], v[128:131]// 00000000356C: D3CD0080 0E02E1D0
	v_mfma_f32_16x16x16_f16 v[128:131], a[210:211], v[114:115], v[128:131]// 000000003574: D3CD0080 0E02E5D2
	buffer_load_dwordx4 a[168:171], v138, s[20:23], 0 offen offset:1024// 00000000357C: E05C1400 8085A88A
	v_mfma_f32_16x16x16_f16 v[128:131], a[212:213], v[116:117], v[128:131]// 000000003584: D3CD0080 0E02E9D4
	v_mfma_f32_16x16x16_f16 v[128:131], a[214:215], v[118:119], v[128:131]// 00000000358C: D3CD0080 0E02EDD6
	v_mfma_f32_16x16x16_f16 v[128:131], a[216:217], v[120:121], v[128:131]// 000000003594: D3CD0080 0E02F1D8
	v_mfma_f32_16x16x16_f16 v[128:131], a[218:219], v[122:123], v[128:131]// 00000000359C: D3CD0080 0E02F5DA
	buffer_load_dwordx4 a[172:175], v139, s[20:23], 0 offen offset:1024// 0000000035A4: E05C1400 8085AC8B
	v_mfma_f32_16x16x16_f16 v[128:131], a[220:221], v[124:125], v[128:131]// 0000000035AC: D3CD0080 0E02F9DC
	v_mfma_f32_16x16x16_f16 v[128:131], a[222:223], v[126:127], v[128:131]// 0000000035B4: D3CD0080 0E02FDDE
	v_mfma_f32_16x16x16_f16 v[132:135], a[224:225], v[96:97], v[132:135]// 0000000035BC: D3CD0084 0E12C1E0
	v_mfma_f32_16x16x16_f16 v[132:135], a[226:227], v[98:99], v[132:135]// 0000000035C4: D3CD0084 0E12C5E2
	buffer_load_dwordx4 a[176:179], v140, s[20:23], 0 offen offset:1024// 0000000035CC: E05C1400 8085B08C
	v_mfma_f32_16x16x16_f16 v[132:135], a[228:229], v[100:101], v[132:135]// 0000000035D4: D3CD0084 0E12C9E4
	v_mfma_f32_16x16x16_f16 v[132:135], a[230:231], v[102:103], v[132:135]// 0000000035DC: D3CD0084 0E12CDE6
	v_mfma_f32_16x16x16_f16 v[132:135], a[232:233], v[104:105], v[132:135]// 0000000035E4: D3CD0084 0E12D1E8
	v_mfma_f32_16x16x16_f16 v[132:135], a[234:235], v[106:107], v[132:135]// 0000000035EC: D3CD0084 0E12D5EA
	buffer_load_dwordx4 a[180:183], v141, s[20:23], 0 offen offset:1024// 0000000035F4: E05C1400 8085B48D
	v_mfma_f32_16x16x16_f16 v[132:135], a[236:237], v[108:109], v[132:135]// 0000000035FC: D3CD0084 0E12D9EC
	v_mfma_f32_16x16x16_f16 v[132:135], a[238:239], v[110:111], v[132:135]// 000000003604: D3CD0084 0E12DDEE
	v_mfma_f32_16x16x16_f16 v[132:135], a[240:241], v[112:113], v[132:135]// 00000000360C: D3CD0084 0E12E1F0
	v_mfma_f32_16x16x16_f16 v[132:135], a[242:243], v[114:115], v[132:135]// 000000003614: D3CD0084 0E12E5F2
	buffer_load_dwordx4 a[184:187], v142, s[20:23], 0 offen offset:1024// 00000000361C: E05C1400 8085B88E
	v_mfma_f32_16x16x16_f16 v[132:135], a[244:245], v[116:117], v[132:135]// 000000003624: D3CD0084 0E12E9F4
	v_mfma_f32_16x16x16_f16 v[132:135], a[246:247], v[118:119], v[132:135]// 00000000362C: D3CD0084 0E12EDF6
	v_mfma_f32_16x16x16_f16 v[132:135], a[248:249], v[120:121], v[132:135]// 000000003634: D3CD0084 0E12F1F8
	v_mfma_f32_16x16x16_f16 v[132:135], a[250:251], v[122:123], v[132:135]// 00000000363C: D3CD0084 0E12F5FA
	buffer_load_dwordx4 a[188:191], v143, s[20:23], 0 offen offset:1024// 000000003644: E05C1400 8085BC8F
	v_mfma_f32_16x16x16_f16 v[132:135], a[252:253], v[124:125], v[132:135]// 00000000364C: D3CD0084 0E12F9FC
	v_mfma_f32_16x16x16_f16 v[132:135], a[254:255], v[126:127], v[132:135]// 000000003654: D3CD0084 0E12FDFE
	s_lshr_b32 s60, s70, 4                                     // 00000000365C: 8F3C8446
	s_add_u32 s60, 48, s60                                     // 000000003660: 803C3CB0
	s_cmp_ge_u32 s60, s73                                      // 000000003664: BF09493C
	s_cselect_b32 s56, 0, s56                                  // 000000003668: 85383880
	v_mul_u32_u24_dpp v38, v17, v51 row_newbcast:0 row_mask:0xf bank_mask:0xf// 00000000366C: 104C66FA FF015011
	v_mul_u32_u24_dpp v39, v17, v51 row_newbcast:4 row_mask:0xf bank_mask:0xf// 000000003674: 104E66FA FF015411
	v_mul_u32_u24_dpp v40, v17, v51 row_newbcast:8 row_mask:0xf bank_mask:0xf// 00000000367C: 105066FA FF015811
	v_mul_u32_u24_dpp v41, v17, v51 row_newbcast:12 row_mask:0xf bank_mask:0xf// 000000003684: 105266FA FF015C11
	v_add_u32_e32 v26, v38, v6                                 // 00000000368C: 68340D26
	v_add_u32_e32 v27, v39, v6                                 // 000000003690: 68360D27
	v_add_u32_e32 v28, v40, v6                                 // 000000003694: 68380D28
	v_add_u32_e32 v29, v41, v6                                 // 000000003698: 683A0D29
	v_mul_u32_u24_dpp v38, v17, v51 row_newbcast:1 row_mask:0xf bank_mask:0xf// 00000000369C: 104C66FA FF015111
	v_mul_u32_u24_dpp v39, v17, v51 row_newbcast:2 row_mask:0xf bank_mask:0xf// 0000000036A4: 104E66FA FF015211
	v_mul_u32_u24_dpp v40, v17, v51 row_newbcast:5 row_mask:0xf bank_mask:0xf// 0000000036AC: 105066FA FF015511
	v_mul_u32_u24_dpp v41, v17, v51 row_newbcast:6 row_mask:0xf bank_mask:0xf// 0000000036B4: 105266FA FF015611
	v_add_u32_e32 v144, v38, v7                                // 0000000036BC: 69200F26
	v_add_u32_e32 v145, v39, v7                                // 0000000036C0: 69220F27
	v_add_u32_e32 v146, v40, v7                                // 0000000036C4: 69240F28
	v_add_u32_e32 v147, v41, v7                                // 0000000036C8: 69260F29
	v_mul_u32_u24_dpp v38, v17, v51 row_newbcast:9 row_mask:0xf bank_mask:0xf// 0000000036CC: 104C66FA FF015911
	v_mul_u32_u24_dpp v39, v17, v51 row_newbcast:10 row_mask:0xf bank_mask:0xf// 0000000036D4: 104E66FA FF015A11
	v_mul_u32_u24_dpp v40, v17, v51 row_newbcast:13 row_mask:0xf bank_mask:0xf// 0000000036DC: 105066FA FF015D11
	v_mul_u32_u24_dpp v41, v17, v51 row_newbcast:7 row_mask:0xf bank_mask:0xf// 0000000036E4: 105266FA FF015711
	v_add_u32_e32 v148, v38, v7                                // 0000000036EC: 69280F26
	v_add_u32_e32 v149, v39, v7                                // 0000000036F0: 692A0F27
	v_add_u32_e32 v150, v40, v7                                // 0000000036F4: 692C0F28
	v_add_u32_e32 v151, v41, v7                                // 0000000036F8: 692E0F29
	v_add_u32_e32 v1, s56, v1                                  // 0000000036FC: 68020238
	s_addk_i32 s70, 0x100                                      // 000000003700: B7460100
	s_cmp_lt_i32 s70, s71                                      // 000000003704: BF044746
	s_cbranch_scc0 label_0544                                  // 000000003708: BF840001
	s_branch label_01A5                                        // 00000000370C: BF82FC61

0000000000003710 <label_0544>:
	s_nop 0                                                    // 000000003710: BF800000
	s_nop 0                                                    // 000000003714: BF800000
	s_branch label_08E6                                        // 000000003718: BF82039F

000000000000371c <label_0547>:
	s_waitcnt vmcnt(16) lgkmcnt(0)                             // 00000000371C: BF8C4070
	v_mfma_f32_16x16x16_f16 v[96:99], a[0:1], v[80:81], 0      // 000000003720: D3CD0060 0A02A100
	buffer_load_dwordx4 a[64:67], v26, s[16:19], 0 offen       // 000000003728: E05C1000 8084401A
	v_mfma_f32_16x16x16_f16 v[96:99], a[2:3], v[82:83], v[96:99]// 000000003730: D3CD0060 0D82A502
	v_mfma_f32_16x16x16_f16 v[96:99], a[4:5], v[84:85], v[96:99]// 000000003738: D3CD0060 0D82A904
	buffer_load_dword v16, v1, s[24:27], 0 offen               // 000000003740: E0501000 80061001
	v_mfma_f32_16x16x16_f16 v[96:99], a[6:7], v[86:87], v[96:99]// 000000003748: D3CD0060 0D82AD06
	v_mfma_f32_16x16x16_f16 v[96:99], a[8:9], v[88:89], v[96:99]// 000000003750: D3CD0060 0D82B108
	buffer_load_dwordx4 a[68:71], v26, s[16:19], 0 offen offset:1024// 000000003758: E05C1400 8084441A
	v_mfma_f32_16x16x16_f16 v[96:99], a[10:11], v[90:91], v[96:99]// 000000003760: D3CD0060 0D82B50A
	v_mfma_f32_16x16x16_f16 v[96:99], a[12:13], v[92:93], v[96:99]// 000000003768: D3CD0060 0D82B90C
	v_mfma_f32_16x16x16_f16 v[96:99], a[14:15], v[94:95], v[96:99]// 000000003770: D3CD0060 0D82BD0E
	v_mfma_f32_16x16x16_f16 v[100:103], a[16:17], v[80:81], 0  // 000000003778: D3CD0064 0A02A110
	buffer_load_dwordx4 a[72:75], v26, s[16:19], 0 offen offset:2048// 000000003780: E05C1800 8084481A
	v_mfma_f32_16x16x16_f16 v[100:103], a[18:19], v[82:83], v[100:103]// 000000003788: D3CD0064 0D92A512
	v_mfma_f32_16x16x16_f16 v[100:103], a[20:21], v[84:85], v[100:103]// 000000003790: D3CD0064 0D92A914
	v_mfma_f32_16x16x16_f16 v[100:103], a[22:23], v[86:87], v[100:103]// 000000003798: D3CD0064 0D92AD16
	v_mfma_f32_16x16x16_f16 v[100:103], a[24:25], v[88:89], v[100:103]// 0000000037A0: D3CD0064 0D92B118
	buffer_load_dwordx4 a[76:79], v26, s[16:19], 0 offen offset:3072// 0000000037A8: E05C1C00 80844C1A
	v_mfma_f32_16x16x16_f16 v[100:103], a[26:27], v[90:91], v[100:103]// 0000000037B0: D3CD0064 0D92B51A
	v_mfma_f32_16x16x16_f16 v[100:103], a[28:29], v[92:93], v[100:103]// 0000000037B8: D3CD0064 0D92B91C
	v_mfma_f32_16x16x16_f16 v[100:103], a[30:31], v[94:95], v[100:103]// 0000000037C0: D3CD0064 0D92BD1E
	v_mfma_f32_16x16x16_f16 v[104:107], a[32:33], v[80:81], 0  // 0000000037C8: D3CD0068 0A02A120
	buffer_load_dwordx4 a[80:83], v27, s[16:19], 0 offen       // 0000000037D0: E05C1000 8084501B
	v_mfma_f32_16x16x16_f16 v[104:107], a[34:35], v[82:83], v[104:107]// 0000000037D8: D3CD0068 0DA2A522
	v_mfma_f32_16x16x16_f16 v[104:107], a[36:37], v[84:85], v[104:107]// 0000000037E0: D3CD0068 0DA2A924
	v_mfma_f32_16x16x16_f16 v[104:107], a[38:39], v[86:87], v[104:107]// 0000000037E8: D3CD0068 0DA2AD26
	v_mfma_f32_16x16x16_f16 v[104:107], a[40:41], v[88:89], v[104:107]// 0000000037F0: D3CD0068 0DA2B128
	buffer_load_dwordx4 a[84:87], v27, s[16:19], 0 offen offset:1024// 0000000037F8: E05C1400 8084541B
	v_mfma_f32_16x16x16_f16 v[104:107], a[42:43], v[90:91], v[104:107]// 000000003800: D3CD0068 0DA2B52A
	v_mfma_f32_16x16x16_f16 v[104:107], a[44:45], v[92:93], v[104:107]// 000000003808: D3CD0068 0DA2B92C
	v_mfma_f32_16x16x16_f16 v[104:107], a[46:47], v[94:95], v[104:107]// 000000003810: D3CD0068 0DA2BD2E
	v_mfma_f32_16x16x16_f16 v[108:111], a[48:49], v[80:81], 0  // 000000003818: D3CD006C 0A02A130
	buffer_load_dwordx4 a[88:91], v27, s[16:19], 0 offen offset:2048// 000000003820: E05C1800 8084581B
	v_mfma_f32_16x16x16_f16 v[108:111], a[50:51], v[82:83], v[108:111]// 000000003828: D3CD006C 0DB2A532
	v_mfma_f32_16x16x16_f16 v[108:111], a[52:53], v[84:85], v[108:111]// 000000003830: D3CD006C 0DB2A934
	v_mfma_f32_16x16x16_f16 v[108:111], a[54:55], v[86:87], v[108:111]// 000000003838: D3CD006C 0DB2AD36
	v_mfma_f32_16x16x16_f16 v[108:111], a[56:57], v[88:89], v[108:111]// 000000003840: D3CD006C 0DB2B138
	buffer_load_dwordx4 a[92:95], v27, s[16:19], 0 offen offset:3072// 000000003848: E05C1C00 80845C1B
	v_mfma_f32_16x16x16_f16 v[108:111], a[58:59], v[90:91], v[108:111]// 000000003850: D3CD006C 0DB2B53A
	v_mfma_f32_16x16x16_f16 v[108:111], a[60:61], v[92:93], v[108:111]// 000000003858: D3CD006C 0DB2B93C
	v_mfma_f32_16x16x16_f16 v[108:111], a[62:63], v[94:95], v[108:111]// 000000003860: D3CD006C 0DB2BD3E
	buffer_load_dwordx4 a[96:99], v28, s[16:19], 0 offen       // 000000003868: E05C1000 8084601C
	s_nop 8                                                    // 000000003870: BF800008
	buffer_load_dwordx4 a[100:103], v28, s[16:19], 0 offen offset:1024// 000000003874: E05C1400 8084641C
	v_mov_b32_e32 v48, v96                                     // 00000000387C: 7E600360
	v_max3_f32 v48, v96, v97, v48                              // 000000003880: D1D30030 04C2C360
	v_max3_f32 v48, v98, v99, v48                              // 000000003888: D1D30030 04C2C762
	v_max3_f32 v48, v100, v101, v48                            // 000000003890: D1D30030 04C2CB64
	v_max3_f32 v48, v102, v103, v48                            // 000000003898: D1D30030 04C2CF66
	v_max3_f32 v48, v104, v105, v48                            // 0000000038A0: D1D30030 04C2D368
	v_max3_f32 v48, v106, v107, v48                            // 0000000038A8: D1D30030 04C2D76A
	v_max3_f32 v48, v108, v109, v48                            // 0000000038B0: D1D30030 04C2DB6C
	v_max3_f32 v48, v110, v111, v48                            // 0000000038B8: D1D30030 04C2DF6E
	ds_write_b32 v11, v48 offset:4224                          // 0000000038C0: D81A1080 0000300B
	buffer_load_dwordx4 a[104:107], v28, s[16:19], 0 offen offset:2048// 0000000038C8: E05C1800 8084681C
	s_waitcnt lgkmcnt(0)                                       // 0000000038D0: BF8CC07F
	s_barrier                                                  // 0000000038D4: BF8A0000
	ds_read_b32 v64, v10 offset:4224                           // 0000000038D8: D86C1080 4000000A
	buffer_load_dwordx4 a[108:111], v28, s[16:19], 0 offen offset:3072// 0000000038E0: E05C1C00 80846C1C
	ds_read_b32 v65, v10 offset:4288                           // 0000000038E8: D86C10C0 4100000A
	ds_read_b32 v66, v10 offset:4352                           // 0000000038F0: D86C1100 4200000A
	ds_read_b32 v67, v10 offset:4416                           // 0000000038F8: D86C1140 4300000A
	ds_read_b32 v68, v10 offset:4480                           // 000000003900: D86C1180 4400000A
	ds_read_b32 v69, v10 offset:4544                           // 000000003908: D86C11C0 4500000A
	ds_read_b32 v70, v10 offset:4608                           // 000000003910: D86C1200 4600000A
	ds_read_b32 v71, v10 offset:4672                           // 000000003918: D86C1240 4700000A
	ds_read_b32 v72, v10 offset:4736                           // 000000003920: D86C1280 4800000A
	buffer_load_dwordx4 a[112:115], v29, s[16:19], 0 offen     // 000000003928: E05C1000 8084701D
	ds_read_b32 v73, v10 offset:4800                           // 000000003930: D86C12C0 4900000A
	ds_read_b32 v74, v10 offset:4864                           // 000000003938: D86C1300 4A00000A
	ds_read_b32 v75, v10 offset:4928                           // 000000003940: D86C1340 4B00000A
	ds_read_b32 v76, v10 offset:4992                           // 000000003948: D86C1380 4C00000A
	ds_read_b32 v77, v10 offset:5056                           // 000000003950: D86C13C0 4D00000A
	ds_read_b32 v78, v10 offset:5120                           // 000000003958: D86C1400 4E00000A
	ds_read_b32 v79, v10 offset:5184                           // 000000003960: D86C1440 4F00000A
	buffer_load_dwordx4 a[116:119], v29, s[16:19], 0 offen offset:1024// 000000003968: E05C1400 8084741D
	buffer_load_dwordx4 a[120:123], v29, s[16:19], 0 offen offset:2048// 000000003970: E05C1800 8084781D
	s_waitcnt lgkmcnt(0)                                       // 000000003978: BF8CC07F
	v_max3_f32 v48, v64, v65, v48                              // 00000000397C: D1D30030 04C28340
	v_max3_f32 v48, v66, v67, v48                              // 000000003984: D1D30030 04C28742
	v_max3_f32 v48, v68, v69, v48                              // 00000000398C: D1D30030 04C28B44
	v_max3_f32 v48, v70, v71, v48                              // 000000003994: D1D30030 04C28F46
	v_max3_f32 v48, v72, v73, v48                              // 00000000399C: D1D30030 04C29348
	v_max3_f32 v48, v74, v75, v48                              // 0000000039A4: D1D30030 04C2974A
	v_max3_f32 v48, v76, v77, v48                              // 0000000039AC: D1D30030 04C29B4C
	v_max3_f32 v48, v78, v79, v48                              // 0000000039B4: D1D30030 04C29F4E
	buffer_load_dwordx4 a[124:127], v29, s[16:19], 0 offen offset:3072// 0000000039BC: E05C1C00 80847C1D
	v_cmp_eq_u32_e64 s[40:41], v52, v14                        // 0000000039C4: D0CA0028 00021D34
	s_nop 1                                                    // 0000000039CC: BF800001
	v_max_f32_e32 v15, v48, v14                                // 0000000039D0: 161E1D30
	v_sub_f32_e32 v49, v14, v15                                // 0000000039D4: 04621F0E
	v_cndmask_b32_e64 v49, v49, 0, s[40:41]                    // 0000000039D8: D1000031 00A10131
	v_mov_b32_e32 v14, v15                                     // 0000000039E0: 7E1C030F
	v_mul_f32_e32 v50, s64, v15                                // 0000000039E4: 0A641E40
	v_mul_f32_e32 v49, s64, v49                                // 0000000039E8: 0A626240
	v_exp_f32_e32 v49, v49                                     // 0000000039EC: 7E624131
	buffer_load_dwordx4 a[192:195], v144, s[20:23], 0 offen    // 0000000039F0: E05C1000 8085C090
	v_fma_f32 v96, v96, s64, -v50                              // 0000000039F8: D1CB0060 84C88160
	v_fma_f32 v97, v97, s64, -v50                              // 000000003A00: D1CB0061 84C88161
	v_fma_f32 v98, v98, s64, -v50                              // 000000003A08: D1CB0062 84C88162
	v_fma_f32 v99, v99, s64, -v50                              // 000000003A10: D1CB0063 84C88163
	v_fma_f32 v100, v100, s64, -v50                            // 000000003A18: D1CB0064 84C88164
	v_fma_f32 v101, v101, s64, -v50                            // 000000003A20: D1CB0065 84C88165
	v_fma_f32 v102, v102, s64, -v50                            // 000000003A28: D1CB0066 84C88166
	v_fma_f32 v103, v103, s64, -v50                            // 000000003A30: D1CB0067 84C88167
	v_fma_f32 v104, v104, s64, -v50                            // 000000003A38: D1CB0068 84C88168
	v_fma_f32 v105, v105, s64, -v50                            // 000000003A40: D1CB0069 84C88169
	v_fma_f32 v106, v106, s64, -v50                            // 000000003A48: D1CB006A 84C8816A
	v_fma_f32 v107, v107, s64, -v50                            // 000000003A50: D1CB006B 84C8816B
	v_fma_f32 v108, v108, s64, -v50                            // 000000003A58: D1CB006C 84C8816C
	v_fma_f32 v109, v109, s64, -v50                            // 000000003A60: D1CB006D 84C8816D
	v_fma_f32 v110, v110, s64, -v50                            // 000000003A68: D1CB006E 84C8816E
	v_fma_f32 v111, v111, s64, -v50                            // 000000003A70: D1CB006F 84C8816F
	v_exp_f32_e32 v96, v96                                     // 000000003A78: 7EC04160
	v_exp_f32_e32 v97, v97                                     // 000000003A7C: 7EC24161
	v_exp_f32_e32 v98, v98                                     // 000000003A80: 7EC44162
	v_exp_f32_e32 v99, v99                                     // 000000003A84: 7EC64163
	v_exp_f32_e32 v100, v100                                   // 000000003A88: 7EC84164
	v_exp_f32_e32 v101, v101                                   // 000000003A8C: 7ECA4165
	v_exp_f32_e32 v102, v102                                   // 000000003A90: 7ECC4166
	v_exp_f32_e32 v103, v103                                   // 000000003A94: 7ECE4167
	v_exp_f32_e32 v104, v104                                   // 000000003A98: 7ED04168
	v_exp_f32_e32 v105, v105                                   // 000000003A9C: 7ED24169
	v_exp_f32_e32 v106, v106                                   // 000000003AA0: 7ED4416A
	v_exp_f32_e32 v107, v107                                   // 000000003AA4: 7ED6416B
	v_exp_f32_e32 v108, v108                                   // 000000003AA8: 7ED8416C
	v_exp_f32_e32 v109, v109                                   // 000000003AAC: 7EDA416D
	v_exp_f32_e32 v110, v110                                   // 000000003AB0: 7EDC416E
	v_exp_f32_e32 v111, v111                                   // 000000003AB4: 7EDE416F
	buffer_load_dwordx4 a[196:199], v145, s[20:23], 0 offen    // 000000003AB8: E05C1000 8085C491
	v_mul_f32_e32 v42, v49, v42                                // 000000003AC0: 0A545531
	v_mov_b32_e32 v43, v96                                     // 000000003AC4: 7E560360
	v_add_f32_e32 v43, v97, v43                                // 000000003AC8: 02565761
	v_add_f32_e32 v43, v98, v43                                // 000000003ACC: 02565762
	v_add_f32_e32 v43, v99, v43                                // 000000003AD0: 02565763
	v_add_f32_e32 v43, v100, v43                               // 000000003AD4: 02565764
	v_add_f32_e32 v43, v101, v43                               // 000000003AD8: 02565765
	v_add_f32_e32 v43, v102, v43                               // 000000003ADC: 02565766
	v_add_f32_e32 v43, v103, v43                               // 000000003AE0: 02565767
	v_add_f32_e32 v43, v104, v43                               // 000000003AE4: 02565768
	v_add_f32_e32 v43, v105, v43                               // 000000003AE8: 02565769
	v_add_f32_e32 v43, v106, v43                               // 000000003AEC: 0256576A
	v_add_f32_e32 v43, v107, v43                               // 000000003AF0: 0256576B
	v_add_f32_e32 v43, v108, v43                               // 000000003AF4: 0256576C
	v_add_f32_e32 v43, v109, v43                               // 000000003AF8: 0256576D
	v_add_f32_e32 v43, v110, v43                               // 000000003AFC: 0256576E
	v_add_f32_e32 v43, v111, v43                               // 000000003B00: 0256576F
	v_add_f32_e32 v42, v43, v42                                // 000000003B04: 0254552B
	buffer_load_dwordx4 a[200:203], v146, s[20:23], 0 offen    // 000000003B08: E05C1000 8085C892
	v_cvt_pkrtz_f16_f32 v38, v96, v97                          // 000000003B10: D2960026 0002C360
	v_mov_b32_e32 v96, v38                                     // 000000003B18: 7EC00326
	v_cvt_pkrtz_f16_f32 v38, v98, v99                          // 000000003B1C: D2960026 0002C762
	v_mov_b32_e32 v97, v38                                     // 000000003B24: 7EC20326
	v_cvt_pkrtz_f16_f32 v38, v100, v101                        // 000000003B28: D2960026 0002CB64
	v_mov_b32_e32 v98, v38                                     // 000000003B30: 7EC40326
	v_cvt_pkrtz_f16_f32 v38, v102, v103                        // 000000003B34: D2960026 0002CF66
	v_mov_b32_e32 v99, v38                                     // 000000003B3C: 7EC60326
	v_cvt_pkrtz_f16_f32 v38, v104, v105                        // 000000003B40: D2960026 0002D368
	v_mov_b32_e32 v100, v38                                    // 000000003B48: 7EC80326
	v_cvt_pkrtz_f16_f32 v38, v106, v107                        // 000000003B4C: D2960026 0002D76A
	v_mov_b32_e32 v101, v38                                    // 000000003B54: 7ECA0326
	v_cvt_pkrtz_f16_f32 v38, v108, v109                        // 000000003B58: D2960026 0002DB6C
	v_mov_b32_e32 v102, v38                                    // 000000003B60: 7ECC0326
	v_cvt_pkrtz_f16_f32 v38, v110, v111                        // 000000003B64: D2960026 0002DF6E
	v_mov_b32_e32 v103, v38                                    // 000000003B6C: 7ECE0326
	buffer_load_dwordx4 a[204:207], v147, s[20:23], 0 offen    // 000000003B70: E05C1000 8085CC93
	buffer_load_dwordx4 a[208:211], v148, s[20:23], 0 offen    // 000000003B78: E05C1000 8085D094
	ds_write_b64 v13, v[96:97] offset:5248                     // 000000003B80: D89A1480 0000600D
	ds_write_b64 v13, v[98:99] offset:7296                     // 000000003B88: D89A1C80 0000620D
	ds_write_b64 v13, v[100:101] offset:9344                   // 000000003B90: D89A2480 0000640D
	ds_write_b64 v13, v[102:103] offset:11392                  // 000000003B98: D89A2C80 0000660D
	buffer_load_dwordx4 a[212:215], v149, s[20:23], 0 offen    // 000000003BA0: E05C1000 8085D495
	s_waitcnt lgkmcnt(0)                                       // 000000003BA8: BF8CC07F
	s_barrier                                                  // 000000003BAC: BF8A0000
	ds_read_b64 v[96:97], v12 offset:5248                      // 000000003BB0: D8EC1480 6000000C
	ds_read_b64 v[98:99], v12 offset:5376                      // 000000003BB8: D8EC1500 6200000C
	ds_read_b64 v[100:101], v12 offset:6272                    // 000000003BC0: D8EC1880 6400000C
	ds_read_b64 v[102:103], v12 offset:6400                    // 000000003BC8: D8EC1900 6600000C
	ds_read_b64 v[104:105], v12 offset:7296                    // 000000003BD0: D8EC1C80 6800000C
	ds_read_b64 v[106:107], v12 offset:7424                    // 000000003BD8: D8EC1D00 6A00000C
	ds_read_b64 v[108:109], v12 offset:8320                    // 000000003BE0: D8EC2080 6C00000C
	ds_read_b64 v[110:111], v12 offset:8448                    // 000000003BE8: D8EC2100 6E00000C
	ds_read_b64 v[112:113], v12 offset:9344                    // 000000003BF0: D8EC2480 7000000C
	ds_read_b64 v[114:115], v12 offset:9472                    // 000000003BF8: D8EC2500 7200000C
	ds_read_b64 v[116:117], v12 offset:10368                   // 000000003C00: D8EC2880 7400000C
	ds_read_b64 v[118:119], v12 offset:10496                   // 000000003C08: D8EC2900 7600000C
	ds_read_b64 v[120:121], v12 offset:11392                   // 000000003C10: D8EC2C80 7800000C
	ds_read_b64 v[122:123], v12 offset:11520                   // 000000003C18: D8EC2D00 7A00000C
	ds_read_b64 v[124:125], v12 offset:12416                   // 000000003C20: D8EC3080 7C00000C
	ds_read_b64 v[126:127], v12 offset:12544                   // 000000003C28: D8EC3100 7E00000C
	buffer_load_dwordx4 a[216:219], v150, s[20:23], 0 offen    // 000000003C30: E05C1000 8085D896
	buffer_load_dwordx4 a[220:223], v151, s[20:23], 0 offen    // 000000003C38: E05C1000 8085DC97
	s_waitcnt lgkmcnt(0)                                       // 000000003C40: BF8CC07F
	v_mul_f32_e32 v128, v49, v128                              // 000000003C44: 0B010131
	v_mul_f32_e32 v129, v49, v129                              // 000000003C48: 0B030331
	v_mul_f32_e32 v130, v49, v130                              // 000000003C4C: 0B050531
	v_mul_f32_e32 v131, v49, v131                              // 000000003C50: 0B070731
	v_mul_f32_e32 v132, v49, v132                              // 000000003C54: 0B090931
	v_mul_f32_e32 v133, v49, v133                              // 000000003C58: 0B0B0B31
	v_mul_f32_e32 v134, v49, v134                              // 000000003C5C: 0B0D0D31
	v_mul_f32_e32 v135, v49, v135                              // 000000003C60: 0B0F0F31
	s_waitcnt vmcnt(24)                                        // 000000003C64: BF8C4F78
	v_mfma_f32_16x16x16_f16 v[128:131], a[128:129], v[96:97], v[128:131]// 000000003C68: D3CD0080 0E02C180
	buffer_load_dwordx4 a[224:227], v144, s[20:23], 0 offen offset:1024// 000000003C70: E05C1400 8085E090
	v_mfma_f32_16x16x16_f16 v[128:131], a[130:131], v[98:99], v[128:131]// 000000003C78: D3CD0080 0E02C582
	v_mfma_f32_16x16x16_f16 v[128:131], a[132:133], v[100:101], v[128:131]// 000000003C80: D3CD0080 0E02C984
	v_mfma_f32_16x16x16_f16 v[128:131], a[134:135], v[102:103], v[128:131]// 000000003C88: D3CD0080 0E02CD86
	v_mfma_f32_16x16x16_f16 v[128:131], a[136:137], v[104:105], v[128:131]// 000000003C90: D3CD0080 0E02D188
	buffer_load_dwordx4 a[228:231], v145, s[20:23], 0 offen offset:1024// 000000003C98: E05C1400 8085E491
	v_mfma_f32_16x16x16_f16 v[128:131], a[138:139], v[106:107], v[128:131]// 000000003CA0: D3CD0080 0E02D58A
	v_mfma_f32_16x16x16_f16 v[128:131], a[140:141], v[108:109], v[128:131]// 000000003CA8: D3CD0080 0E02D98C
	v_mfma_f32_16x16x16_f16 v[128:131], a[142:143], v[110:111], v[128:131]// 000000003CB0: D3CD0080 0E02DD8E
	v_mfma_f32_16x16x16_f16 v[128:131], a[144:145], v[112:113], v[128:131]// 000000003CB8: D3CD0080 0E02E190
	buffer_load_dwordx4 a[232:235], v146, s[20:23], 0 offen offset:1024// 000000003CC0: E05C1400 8085E892
	v_mfma_f32_16x16x16_f16 v[128:131], a[146:147], v[114:115], v[128:131]// 000000003CC8: D3CD0080 0E02E592
	v_mfma_f32_16x16x16_f16 v[128:131], a[148:149], v[116:117], v[128:131]// 000000003CD0: D3CD0080 0E02E994
	v_mfma_f32_16x16x16_f16 v[128:131], a[150:151], v[118:119], v[128:131]// 000000003CD8: D3CD0080 0E02ED96
	v_mfma_f32_16x16x16_f16 v[128:131], a[152:153], v[120:121], v[128:131]// 000000003CE0: D3CD0080 0E02F198
	buffer_load_dwordx4 a[236:239], v147, s[20:23], 0 offen offset:1024// 000000003CE8: E05C1400 8085EC93
	v_mfma_f32_16x16x16_f16 v[128:131], a[154:155], v[122:123], v[128:131]// 000000003CF0: D3CD0080 0E02F59A
	v_mfma_f32_16x16x16_f16 v[128:131], a[156:157], v[124:125], v[128:131]// 000000003CF8: D3CD0080 0E02F99C
	v_mfma_f32_16x16x16_f16 v[128:131], a[158:159], v[126:127], v[128:131]// 000000003D00: D3CD0080 0E02FD9E
	v_mfma_f32_16x16x16_f16 v[132:135], a[160:161], v[96:97], v[132:135]// 000000003D08: D3CD0084 0E12C1A0
	buffer_load_dwordx4 a[240:243], v148, s[20:23], 0 offen offset:1024// 000000003D10: E05C1400 8085F094
	v_mfma_f32_16x16x16_f16 v[132:135], a[162:163], v[98:99], v[132:135]// 000000003D18: D3CD0084 0E12C5A2
	v_mfma_f32_16x16x16_f16 v[132:135], a[164:165], v[100:101], v[132:135]// 000000003D20: D3CD0084 0E12C9A4
	v_mfma_f32_16x16x16_f16 v[132:135], a[166:167], v[102:103], v[132:135]// 000000003D28: D3CD0084 0E12CDA6
	v_mfma_f32_16x16x16_f16 v[132:135], a[168:169], v[104:105], v[132:135]// 000000003D30: D3CD0084 0E12D1A8
	buffer_load_dwordx4 a[244:247], v149, s[20:23], 0 offen offset:1024// 000000003D38: E05C1400 8085F495
	v_mfma_f32_16x16x16_f16 v[132:135], a[170:171], v[106:107], v[132:135]// 000000003D40: D3CD0084 0E12D5AA
	v_mfma_f32_16x16x16_f16 v[132:135], a[172:173], v[108:109], v[132:135]// 000000003D48: D3CD0084 0E12D9AC
	v_mfma_f32_16x16x16_f16 v[132:135], a[174:175], v[110:111], v[132:135]// 000000003D50: D3CD0084 0E12DDAE
	v_mfma_f32_16x16x16_f16 v[132:135], a[176:177], v[112:113], v[132:135]// 000000003D58: D3CD0084 0E12E1B0
	buffer_load_dwordx4 a[248:251], v150, s[20:23], 0 offen offset:1024// 000000003D60: E05C1400 8085F896
	v_mfma_f32_16x16x16_f16 v[132:135], a[178:179], v[114:115], v[132:135]// 000000003D68: D3CD0084 0E12E5B2
	v_mfma_f32_16x16x16_f16 v[132:135], a[180:181], v[116:117], v[132:135]// 000000003D70: D3CD0084 0E12E9B4
	v_mfma_f32_16x16x16_f16 v[132:135], a[182:183], v[118:119], v[132:135]// 000000003D78: D3CD0084 0E12EDB6
	v_mfma_f32_16x16x16_f16 v[132:135], a[184:185], v[120:121], v[132:135]// 000000003D80: D3CD0084 0E12F1B8
	buffer_load_dwordx4 a[252:255], v151, s[20:23], 0 offen offset:1024// 000000003D88: E05C1400 8085FC97
	v_mfma_f32_16x16x16_f16 v[132:135], a[186:187], v[122:123], v[132:135]// 000000003D90: D3CD0084 0E12F5BA
	v_mfma_f32_16x16x16_f16 v[132:135], a[188:189], v[124:125], v[132:135]// 000000003D98: D3CD0084 0E12F9BC
	v_mfma_f32_16x16x16_f16 v[132:135], a[190:191], v[126:127], v[132:135]// 000000003DA0: D3CD0084 0E12FDBE
	s_lshr_b32 s60, s70, 4                                     // 000000003DA8: 8F3C8446
	s_add_u32 s60, 48, s60                                     // 000000003DAC: 803C3CB0
	s_cmp_ge_u32 s60, s73                                      // 000000003DB0: BF09493C
	s_cselect_b32 s56, 0, s56                                  // 000000003DB4: 85383880
	v_mul_u32_u24_dpp v38, v16, v51 row_newbcast:0 row_mask:0xf bank_mask:0xf// 000000003DB8: 104C66FA FF015010
	v_mul_u32_u24_dpp v39, v16, v51 row_newbcast:4 row_mask:0xf bank_mask:0xf// 000000003DC0: 104E66FA FF015410
	v_mul_u32_u24_dpp v40, v16, v51 row_newbcast:8 row_mask:0xf bank_mask:0xf// 000000003DC8: 105066FA FF015810
	v_mul_u32_u24_dpp v41, v16, v51 row_newbcast:12 row_mask:0xf bank_mask:0xf// 000000003DD0: 105266FA FF015C10
	v_add_u32_e32 v22, v38, v6                                 // 000000003DD8: 682C0D26
	v_add_u32_e32 v23, v39, v6                                 // 000000003DDC: 682E0D27
	v_add_u32_e32 v24, v40, v6                                 // 000000003DE0: 68300D28
	v_add_u32_e32 v25, v41, v6                                 // 000000003DE4: 68320D29
	v_mul_u32_u24_dpp v38, v16, v51 row_newbcast:1 row_mask:0xf bank_mask:0xf// 000000003DE8: 104C66FA FF015110
	v_mul_u32_u24_dpp v39, v16, v51 row_newbcast:2 row_mask:0xf bank_mask:0xf// 000000003DF0: 104E66FA FF015210
	v_mul_u32_u24_dpp v40, v16, v51 row_newbcast:5 row_mask:0xf bank_mask:0xf// 000000003DF8: 105066FA FF015510
	v_mul_u32_u24_dpp v41, v16, v51 row_newbcast:6 row_mask:0xf bank_mask:0xf// 000000003E00: 105266FA FF015610
	v_add_u32_e32 v136, v38, v7                                // 000000003E08: 69100F26
	v_add_u32_e32 v137, v39, v7                                // 000000003E0C: 69120F27
	v_add_u32_e32 v138, v40, v7                                // 000000003E10: 69140F28
	v_add_u32_e32 v139, v41, v7                                // 000000003E14: 69160F29
	v_mul_u32_u24_dpp v38, v16, v51 row_newbcast:9 row_mask:0xf bank_mask:0xf// 000000003E18: 104C66FA FF015910
	v_mul_u32_u24_dpp v39, v16, v51 row_newbcast:10 row_mask:0xf bank_mask:0xf// 000000003E20: 104E66FA FF015A10
	v_mul_u32_u24_dpp v40, v16, v51 row_newbcast:13 row_mask:0xf bank_mask:0xf// 000000003E28: 105066FA FF015D10
	v_mul_u32_u24_dpp v41, v16, v51 row_newbcast:7 row_mask:0xf bank_mask:0xf// 000000003E30: 105266FA FF015710
	v_add_u32_e32 v140, v38, v7                                // 000000003E38: 69180F26
	v_add_u32_e32 v141, v39, v7                                // 000000003E3C: 691A0F27
	v_add_u32_e32 v142, v40, v7                                // 000000003E40: 691C0F28
	v_add_u32_e32 v143, v41, v7                                // 000000003E44: 691E0F29
	v_add_u32_e32 v1, s56, v1                                  // 000000003E48: 68020238
	s_addk_i32 s70, 0x100                                      // 000000003E4C: B7460100
	s_cmp_lt_i32 s70, s71                                      // 000000003E50: BF044746
	s_cbranch_scc0 label_0544                                  // 000000003E54: BF84FE2E
	s_waitcnt vmcnt(16) lgkmcnt(0)                             // 000000003E58: BF8C4070
	v_mfma_f32_16x16x16_f16 v[96:99], a[64:65], v[80:81], 0    // 000000003E5C: D3CD0060 0A02A140
	buffer_load_dwordx4 a[0:3], v22, s[16:19], 0 offen         // 000000003E64: E05C1000 80840016
	v_mfma_f32_16x16x16_f16 v[96:99], a[66:67], v[82:83], v[96:99]// 000000003E6C: D3CD0060 0D82A542
	v_mfma_f32_16x16x16_f16 v[96:99], a[68:69], v[84:85], v[96:99]// 000000003E74: D3CD0060 0D82A944
	buffer_load_dword v17, v1, s[24:27], 0 offen               // 000000003E7C: E0501000 80061101
	v_mfma_f32_16x16x16_f16 v[96:99], a[70:71], v[86:87], v[96:99]// 000000003E84: D3CD0060 0D82AD46
	v_mfma_f32_16x16x16_f16 v[96:99], a[72:73], v[88:89], v[96:99]// 000000003E8C: D3CD0060 0D82B148
	buffer_load_dwordx4 a[4:7], v22, s[16:19], 0 offen offset:1024// 000000003E94: E05C1400 80840416
	v_mfma_f32_16x16x16_f16 v[96:99], a[74:75], v[90:91], v[96:99]// 000000003E9C: D3CD0060 0D82B54A
	v_mfma_f32_16x16x16_f16 v[96:99], a[76:77], v[92:93], v[96:99]// 000000003EA4: D3CD0060 0D82B94C
	v_mfma_f32_16x16x16_f16 v[96:99], a[78:79], v[94:95], v[96:99]// 000000003EAC: D3CD0060 0D82BD4E
	v_mfma_f32_16x16x16_f16 v[100:103], a[80:81], v[80:81], 0  // 000000003EB4: D3CD0064 0A02A150
	buffer_load_dwordx4 a[8:11], v22, s[16:19], 0 offen offset:2048// 000000003EBC: E05C1800 80840816
	v_mfma_f32_16x16x16_f16 v[100:103], a[82:83], v[82:83], v[100:103]// 000000003EC4: D3CD0064 0D92A552
	v_mfma_f32_16x16x16_f16 v[100:103], a[84:85], v[84:85], v[100:103]// 000000003ECC: D3CD0064 0D92A954
	v_mfma_f32_16x16x16_f16 v[100:103], a[86:87], v[86:87], v[100:103]// 000000003ED4: D3CD0064 0D92AD56
	v_mfma_f32_16x16x16_f16 v[100:103], a[88:89], v[88:89], v[100:103]// 000000003EDC: D3CD0064 0D92B158
	buffer_load_dwordx4 a[12:15], v22, s[16:19], 0 offen offset:3072// 000000003EE4: E05C1C00 80840C16
	v_mfma_f32_16x16x16_f16 v[100:103], a[90:91], v[90:91], v[100:103]// 000000003EEC: D3CD0064 0D92B55A
	v_mfma_f32_16x16x16_f16 v[100:103], a[92:93], v[92:93], v[100:103]// 000000003EF4: D3CD0064 0D92B95C
	v_mfma_f32_16x16x16_f16 v[100:103], a[94:95], v[94:95], v[100:103]// 000000003EFC: D3CD0064 0D92BD5E
	v_mfma_f32_16x16x16_f16 v[104:107], a[96:97], v[80:81], 0  // 000000003F04: D3CD0068 0A02A160
	buffer_load_dwordx4 a[16:19], v23, s[16:19], 0 offen       // 000000003F0C: E05C1000 80841017
	v_mfma_f32_16x16x16_f16 v[104:107], a[98:99], v[82:83], v[104:107]// 000000003F14: D3CD0068 0DA2A562
	v_mfma_f32_16x16x16_f16 v[104:107], a[100:101], v[84:85], v[104:107]// 000000003F1C: D3CD0068 0DA2A964
	v_mfma_f32_16x16x16_f16 v[104:107], a[102:103], v[86:87], v[104:107]// 000000003F24: D3CD0068 0DA2AD66
	v_mfma_f32_16x16x16_f16 v[104:107], a[104:105], v[88:89], v[104:107]// 000000003F2C: D3CD0068 0DA2B168
	buffer_load_dwordx4 a[20:23], v23, s[16:19], 0 offen offset:1024// 000000003F34: E05C1400 80841417
	v_mfma_f32_16x16x16_f16 v[104:107], a[106:107], v[90:91], v[104:107]// 000000003F3C: D3CD0068 0DA2B56A
	v_mfma_f32_16x16x16_f16 v[104:107], a[108:109], v[92:93], v[104:107]// 000000003F44: D3CD0068 0DA2B96C
	v_mfma_f32_16x16x16_f16 v[104:107], a[110:111], v[94:95], v[104:107]// 000000003F4C: D3CD0068 0DA2BD6E
	v_mfma_f32_16x16x16_f16 v[108:111], a[112:113], v[80:81], 0// 000000003F54: D3CD006C 0A02A170
	buffer_load_dwordx4 a[24:27], v23, s[16:19], 0 offen offset:2048// 000000003F5C: E05C1800 80841817
	v_mfma_f32_16x16x16_f16 v[108:111], a[114:115], v[82:83], v[108:111]// 000000003F64: D3CD006C 0DB2A572
	v_mfma_f32_16x16x16_f16 v[108:111], a[116:117], v[84:85], v[108:111]// 000000003F6C: D3CD006C 0DB2A974
	v_mfma_f32_16x16x16_f16 v[108:111], a[118:119], v[86:87], v[108:111]// 000000003F74: D3CD006C 0DB2AD76
	v_mfma_f32_16x16x16_f16 v[108:111], a[120:121], v[88:89], v[108:111]// 000000003F7C: D3CD006C 0DB2B178
	buffer_load_dwordx4 a[28:31], v23, s[16:19], 0 offen offset:3072// 000000003F84: E05C1C00 80841C17
	v_mfma_f32_16x16x16_f16 v[108:111], a[122:123], v[90:91], v[108:111]// 000000003F8C: D3CD006C 0DB2B57A
	v_mfma_f32_16x16x16_f16 v[108:111], a[124:125], v[92:93], v[108:111]// 000000003F94: D3CD006C 0DB2B97C
	v_mfma_f32_16x16x16_f16 v[108:111], a[126:127], v[94:95], v[108:111]// 000000003F9C: D3CD006C 0DB2BD7E
	buffer_load_dwordx4 a[32:35], v24, s[16:19], 0 offen       // 000000003FA4: E05C1000 80842018
	s_nop 8                                                    // 000000003FAC: BF800008
	buffer_load_dwordx4 a[36:39], v24, s[16:19], 0 offen offset:1024// 000000003FB0: E05C1400 80842418
	v_mov_b32_e32 v48, v96                                     // 000000003FB8: 7E600360
	v_max3_f32 v48, v96, v97, v48                              // 000000003FBC: D1D30030 04C2C360
	v_max3_f32 v48, v98, v99, v48                              // 000000003FC4: D1D30030 04C2C762
	v_max3_f32 v48, v100, v101, v48                            // 000000003FCC: D1D30030 04C2CB64
	v_max3_f32 v48, v102, v103, v48                            // 000000003FD4: D1D30030 04C2CF66
	v_max3_f32 v48, v104, v105, v48                            // 000000003FDC: D1D30030 04C2D368
	v_max3_f32 v48, v106, v107, v48                            // 000000003FE4: D1D30030 04C2D76A
	v_max3_f32 v48, v108, v109, v48                            // 000000003FEC: D1D30030 04C2DB6C
	v_max3_f32 v48, v110, v111, v48                            // 000000003FF4: D1D30030 04C2DF6E
	ds_write_b32 v11, v48 offset:4224                          // 000000003FFC: D81A1080 0000300B
	buffer_load_dwordx4 a[40:43], v24, s[16:19], 0 offen offset:2048// 000000004004: E05C1800 80842818
	s_waitcnt lgkmcnt(0)                                       // 00000000400C: BF8CC07F
	s_barrier                                                  // 000000004010: BF8A0000
	ds_read_b32 v64, v10 offset:4224                           // 000000004014: D86C1080 4000000A
	buffer_load_dwordx4 a[44:47], v24, s[16:19], 0 offen offset:3072// 00000000401C: E05C1C00 80842C18
	ds_read_b32 v65, v10 offset:4288                           // 000000004024: D86C10C0 4100000A
	ds_read_b32 v66, v10 offset:4352                           // 00000000402C: D86C1100 4200000A
	ds_read_b32 v67, v10 offset:4416                           // 000000004034: D86C1140 4300000A
	ds_read_b32 v68, v10 offset:4480                           // 00000000403C: D86C1180 4400000A
	ds_read_b32 v69, v10 offset:4544                           // 000000004044: D86C11C0 4500000A
	ds_read_b32 v70, v10 offset:4608                           // 00000000404C: D86C1200 4600000A
	ds_read_b32 v71, v10 offset:4672                           // 000000004054: D86C1240 4700000A
	ds_read_b32 v72, v10 offset:4736                           // 00000000405C: D86C1280 4800000A
	buffer_load_dwordx4 a[48:51], v25, s[16:19], 0 offen       // 000000004064: E05C1000 80843019
	ds_read_b32 v73, v10 offset:4800                           // 00000000406C: D86C12C0 4900000A
	ds_read_b32 v74, v10 offset:4864                           // 000000004074: D86C1300 4A00000A
	ds_read_b32 v75, v10 offset:4928                           // 00000000407C: D86C1340 4B00000A
	ds_read_b32 v76, v10 offset:4992                           // 000000004084: D86C1380 4C00000A
	ds_read_b32 v77, v10 offset:5056                           // 00000000408C: D86C13C0 4D00000A
	ds_read_b32 v78, v10 offset:5120                           // 000000004094: D86C1400 4E00000A
	ds_read_b32 v79, v10 offset:5184                           // 00000000409C: D86C1440 4F00000A
	buffer_load_dwordx4 a[52:55], v25, s[16:19], 0 offen offset:1024// 0000000040A4: E05C1400 80843419
	buffer_load_dwordx4 a[56:59], v25, s[16:19], 0 offen offset:2048// 0000000040AC: E05C1800 80843819
	s_waitcnt lgkmcnt(0)                                       // 0000000040B4: BF8CC07F
	v_max3_f32 v48, v64, v65, v48                              // 0000000040B8: D1D30030 04C28340
	v_max3_f32 v48, v66, v67, v48                              // 0000000040C0: D1D30030 04C28742
	v_max3_f32 v48, v68, v69, v48                              // 0000000040C8: D1D30030 04C28B44
	v_max3_f32 v48, v70, v71, v48                              // 0000000040D0: D1D30030 04C28F46
	v_max3_f32 v48, v72, v73, v48                              // 0000000040D8: D1D30030 04C29348
	v_max3_f32 v48, v74, v75, v48                              // 0000000040E0: D1D30030 04C2974A
	v_max3_f32 v48, v76, v77, v48                              // 0000000040E8: D1D30030 04C29B4C
	v_max3_f32 v48, v78, v79, v48                              // 0000000040F0: D1D30030 04C29F4E
	buffer_load_dwordx4 a[60:63], v25, s[16:19], 0 offen offset:3072// 0000000040F8: E05C1C00 80843C19
	v_cmp_eq_u32_e64 s[40:41], v52, v14                        // 000000004100: D0CA0028 00021D34
	s_nop 1                                                    // 000000004108: BF800001
	v_max_f32_e32 v15, v48, v14                                // 00000000410C: 161E1D30
	v_sub_f32_e32 v49, v14, v15                                // 000000004110: 04621F0E
	v_cndmask_b32_e64 v49, v49, 0, s[40:41]                    // 000000004114: D1000031 00A10131
	v_mov_b32_e32 v14, v15                                     // 00000000411C: 7E1C030F
	v_mul_f32_e32 v50, s64, v15                                // 000000004120: 0A641E40
	v_mul_f32_e32 v49, s64, v49                                // 000000004124: 0A626240
	v_exp_f32_e32 v49, v49                                     // 000000004128: 7E624131
	buffer_load_dwordx4 a[128:131], v136, s[20:23], 0 offen    // 00000000412C: E05C1000 80858088
	v_fma_f32 v96, v96, s64, -v50                              // 000000004134: D1CB0060 84C88160
	v_fma_f32 v97, v97, s64, -v50                              // 00000000413C: D1CB0061 84C88161
	v_fma_f32 v98, v98, s64, -v50                              // 000000004144: D1CB0062 84C88162
	v_fma_f32 v99, v99, s64, -v50                              // 00000000414C: D1CB0063 84C88163
	v_fma_f32 v100, v100, s64, -v50                            // 000000004154: D1CB0064 84C88164
	v_fma_f32 v101, v101, s64, -v50                            // 00000000415C: D1CB0065 84C88165
	v_fma_f32 v102, v102, s64, -v50                            // 000000004164: D1CB0066 84C88166
	v_fma_f32 v103, v103, s64, -v50                            // 00000000416C: D1CB0067 84C88167
	v_fma_f32 v104, v104, s64, -v50                            // 000000004174: D1CB0068 84C88168
	v_fma_f32 v105, v105, s64, -v50                            // 00000000417C: D1CB0069 84C88169
	v_fma_f32 v106, v106, s64, -v50                            // 000000004184: D1CB006A 84C8816A
	v_fma_f32 v107, v107, s64, -v50                            // 00000000418C: D1CB006B 84C8816B
	v_fma_f32 v108, v108, s64, -v50                            // 000000004194: D1CB006C 84C8816C
	v_fma_f32 v109, v109, s64, -v50                            // 00000000419C: D1CB006D 84C8816D
	v_fma_f32 v110, v110, s64, -v50                            // 0000000041A4: D1CB006E 84C8816E
	v_fma_f32 v111, v111, s64, -v50                            // 0000000041AC: D1CB006F 84C8816F
	v_exp_f32_e32 v96, v96                                     // 0000000041B4: 7EC04160
	v_exp_f32_e32 v97, v97                                     // 0000000041B8: 7EC24161
	v_exp_f32_e32 v98, v98                                     // 0000000041BC: 7EC44162
	v_exp_f32_e32 v99, v99                                     // 0000000041C0: 7EC64163
	v_exp_f32_e32 v100, v100                                   // 0000000041C4: 7EC84164
	v_exp_f32_e32 v101, v101                                   // 0000000041C8: 7ECA4165
	v_exp_f32_e32 v102, v102                                   // 0000000041CC: 7ECC4166
	v_exp_f32_e32 v103, v103                                   // 0000000041D0: 7ECE4167
	v_exp_f32_e32 v104, v104                                   // 0000000041D4: 7ED04168
	v_exp_f32_e32 v105, v105                                   // 0000000041D8: 7ED24169
	v_exp_f32_e32 v106, v106                                   // 0000000041DC: 7ED4416A
	v_exp_f32_e32 v107, v107                                   // 0000000041E0: 7ED6416B
	v_exp_f32_e32 v108, v108                                   // 0000000041E4: 7ED8416C
	v_exp_f32_e32 v109, v109                                   // 0000000041E8: 7EDA416D
	v_exp_f32_e32 v110, v110                                   // 0000000041EC: 7EDC416E
	v_exp_f32_e32 v111, v111                                   // 0000000041F0: 7EDE416F
	buffer_load_dwordx4 a[132:135], v137, s[20:23], 0 offen    // 0000000041F4: E05C1000 80858489
	v_mul_f32_e32 v42, v49, v42                                // 0000000041FC: 0A545531
	v_mov_b32_e32 v43, v96                                     // 000000004200: 7E560360
	v_add_f32_e32 v43, v97, v43                                // 000000004204: 02565761
	v_add_f32_e32 v43, v98, v43                                // 000000004208: 02565762
	v_add_f32_e32 v43, v99, v43                                // 00000000420C: 02565763
	v_add_f32_e32 v43, v100, v43                               // 000000004210: 02565764
	v_add_f32_e32 v43, v101, v43                               // 000000004214: 02565765
	v_add_f32_e32 v43, v102, v43                               // 000000004218: 02565766
	v_add_f32_e32 v43, v103, v43                               // 00000000421C: 02565767
	v_add_f32_e32 v43, v104, v43                               // 000000004220: 02565768
	v_add_f32_e32 v43, v105, v43                               // 000000004224: 02565769
	v_add_f32_e32 v43, v106, v43                               // 000000004228: 0256576A
	v_add_f32_e32 v43, v107, v43                               // 00000000422C: 0256576B
	v_add_f32_e32 v43, v108, v43                               // 000000004230: 0256576C
	v_add_f32_e32 v43, v109, v43                               // 000000004234: 0256576D
	v_add_f32_e32 v43, v110, v43                               // 000000004238: 0256576E
	v_add_f32_e32 v43, v111, v43                               // 00000000423C: 0256576F
	v_add_f32_e32 v42, v43, v42                                // 000000004240: 0254552B
	buffer_load_dwordx4 a[136:139], v138, s[20:23], 0 offen    // 000000004244: E05C1000 8085888A
	v_cvt_pkrtz_f16_f32 v38, v96, v97                          // 00000000424C: D2960026 0002C360
	v_mov_b32_e32 v96, v38                                     // 000000004254: 7EC00326
	v_cvt_pkrtz_f16_f32 v38, v98, v99                          // 000000004258: D2960026 0002C762
	v_mov_b32_e32 v97, v38                                     // 000000004260: 7EC20326
	v_cvt_pkrtz_f16_f32 v38, v100, v101                        // 000000004264: D2960026 0002CB64
	v_mov_b32_e32 v98, v38                                     // 00000000426C: 7EC40326
	v_cvt_pkrtz_f16_f32 v38, v102, v103                        // 000000004270: D2960026 0002CF66
	v_mov_b32_e32 v99, v38                                     // 000000004278: 7EC60326
	v_cvt_pkrtz_f16_f32 v38, v104, v105                        // 00000000427C: D2960026 0002D368
	v_mov_b32_e32 v100, v38                                    // 000000004284: 7EC80326
	v_cvt_pkrtz_f16_f32 v38, v106, v107                        // 000000004288: D2960026 0002D76A
	v_mov_b32_e32 v101, v38                                    // 000000004290: 7ECA0326
	v_cvt_pkrtz_f16_f32 v38, v108, v109                        // 000000004294: D2960026 0002DB6C
	v_mov_b32_e32 v102, v38                                    // 00000000429C: 7ECC0326
	v_cvt_pkrtz_f16_f32 v38, v110, v111                        // 0000000042A0: D2960026 0002DF6E
	v_mov_b32_e32 v103, v38                                    // 0000000042A8: 7ECE0326
	buffer_load_dwordx4 a[140:143], v139, s[20:23], 0 offen    // 0000000042AC: E05C1000 80858C8B
	buffer_load_dwordx4 a[144:147], v140, s[20:23], 0 offen    // 0000000042B4: E05C1000 8085908C
	ds_write_b64 v13, v[96:97] offset:5248                     // 0000000042BC: D89A1480 0000600D
	ds_write_b64 v13, v[98:99] offset:7296                     // 0000000042C4: D89A1C80 0000620D
	ds_write_b64 v13, v[100:101] offset:9344                   // 0000000042CC: D89A2480 0000640D
	ds_write_b64 v13, v[102:103] offset:11392                  // 0000000042D4: D89A2C80 0000660D
	buffer_load_dwordx4 a[148:151], v141, s[20:23], 0 offen    // 0000000042DC: E05C1000 8085948D
	s_waitcnt lgkmcnt(0)                                       // 0000000042E4: BF8CC07F
	s_barrier                                                  // 0000000042E8: BF8A0000
	ds_read_b64 v[96:97], v12 offset:5248                      // 0000000042EC: D8EC1480 6000000C
	ds_read_b64 v[98:99], v12 offset:5376                      // 0000000042F4: D8EC1500 6200000C
	ds_read_b64 v[100:101], v12 offset:6272                    // 0000000042FC: D8EC1880 6400000C
	ds_read_b64 v[102:103], v12 offset:6400                    // 000000004304: D8EC1900 6600000C
	ds_read_b64 v[104:105], v12 offset:7296                    // 00000000430C: D8EC1C80 6800000C
	ds_read_b64 v[106:107], v12 offset:7424                    // 000000004314: D8EC1D00 6A00000C
	ds_read_b64 v[108:109], v12 offset:8320                    // 00000000431C: D8EC2080 6C00000C
	ds_read_b64 v[110:111], v12 offset:8448                    // 000000004324: D8EC2100 6E00000C
	ds_read_b64 v[112:113], v12 offset:9344                    // 00000000432C: D8EC2480 7000000C
	ds_read_b64 v[114:115], v12 offset:9472                    // 000000004334: D8EC2500 7200000C
	ds_read_b64 v[116:117], v12 offset:10368                   // 00000000433C: D8EC2880 7400000C
	ds_read_b64 v[118:119], v12 offset:10496                   // 000000004344: D8EC2900 7600000C
	ds_read_b64 v[120:121], v12 offset:11392                   // 00000000434C: D8EC2C80 7800000C
	ds_read_b64 v[122:123], v12 offset:11520                   // 000000004354: D8EC2D00 7A00000C
	ds_read_b64 v[124:125], v12 offset:12416                   // 00000000435C: D8EC3080 7C00000C
	ds_read_b64 v[126:127], v12 offset:12544                   // 000000004364: D8EC3100 7E00000C
	buffer_load_dwordx4 a[152:155], v142, s[20:23], 0 offen    // 00000000436C: E05C1000 8085988E
	buffer_load_dwordx4 a[156:159], v143, s[20:23], 0 offen    // 000000004374: E05C1000 80859C8F
	s_waitcnt lgkmcnt(0)                                       // 00000000437C: BF8CC07F
	v_mul_f32_e32 v128, v49, v128                              // 000000004380: 0B010131
	v_mul_f32_e32 v129, v49, v129                              // 000000004384: 0B030331
	v_mul_f32_e32 v130, v49, v130                              // 000000004388: 0B050531
	v_mul_f32_e32 v131, v49, v131                              // 00000000438C: 0B070731
	v_mul_f32_e32 v132, v49, v132                              // 000000004390: 0B090931
	v_mul_f32_e32 v133, v49, v133                              // 000000004394: 0B0B0B31
	v_mul_f32_e32 v134, v49, v134                              // 000000004398: 0B0D0D31
	v_mul_f32_e32 v135, v49, v135                              // 00000000439C: 0B0F0F31
	s_waitcnt vmcnt(24)                                        // 0000000043A0: BF8C4F78
	v_mfma_f32_16x16x16_f16 v[128:131], a[192:193], v[96:97], v[128:131]// 0000000043A4: D3CD0080 0E02C1C0
	buffer_load_dwordx4 a[160:163], v136, s[20:23], 0 offen offset:1024// 0000000043AC: E05C1400 8085A088
	v_mfma_f32_16x16x16_f16 v[128:131], a[194:195], v[98:99], v[128:131]// 0000000043B4: D3CD0080 0E02C5C2
	v_mfma_f32_16x16x16_f16 v[128:131], a[196:197], v[100:101], v[128:131]// 0000000043BC: D3CD0080 0E02C9C4
	v_mfma_f32_16x16x16_f16 v[128:131], a[198:199], v[102:103], v[128:131]// 0000000043C4: D3CD0080 0E02CDC6
	v_mfma_f32_16x16x16_f16 v[128:131], a[200:201], v[104:105], v[128:131]// 0000000043CC: D3CD0080 0E02D1C8
	buffer_load_dwordx4 a[164:167], v137, s[20:23], 0 offen offset:1024// 0000000043D4: E05C1400 8085A489
	v_mfma_f32_16x16x16_f16 v[128:131], a[202:203], v[106:107], v[128:131]// 0000000043DC: D3CD0080 0E02D5CA
	v_mfma_f32_16x16x16_f16 v[128:131], a[204:205], v[108:109], v[128:131]// 0000000043E4: D3CD0080 0E02D9CC
	v_mfma_f32_16x16x16_f16 v[128:131], a[206:207], v[110:111], v[128:131]// 0000000043EC: D3CD0080 0E02DDCE
	v_mfma_f32_16x16x16_f16 v[128:131], a[208:209], v[112:113], v[128:131]// 0000000043F4: D3CD0080 0E02E1D0
	buffer_load_dwordx4 a[168:171], v138, s[20:23], 0 offen offset:1024// 0000000043FC: E05C1400 8085A88A
	v_mfma_f32_16x16x16_f16 v[128:131], a[210:211], v[114:115], v[128:131]// 000000004404: D3CD0080 0E02E5D2
	v_mfma_f32_16x16x16_f16 v[128:131], a[212:213], v[116:117], v[128:131]// 00000000440C: D3CD0080 0E02E9D4
	v_mfma_f32_16x16x16_f16 v[128:131], a[214:215], v[118:119], v[128:131]// 000000004414: D3CD0080 0E02EDD6
	v_mfma_f32_16x16x16_f16 v[128:131], a[216:217], v[120:121], v[128:131]// 00000000441C: D3CD0080 0E02F1D8
	buffer_load_dwordx4 a[172:175], v139, s[20:23], 0 offen offset:1024// 000000004424: E05C1400 8085AC8B
	v_mfma_f32_16x16x16_f16 v[128:131], a[218:219], v[122:123], v[128:131]// 00000000442C: D3CD0080 0E02F5DA
	v_mfma_f32_16x16x16_f16 v[128:131], a[220:221], v[124:125], v[128:131]// 000000004434: D3CD0080 0E02F9DC
	v_mfma_f32_16x16x16_f16 v[128:131], a[222:223], v[126:127], v[128:131]// 00000000443C: D3CD0080 0E02FDDE
	v_mfma_f32_16x16x16_f16 v[132:135], a[224:225], v[96:97], v[132:135]// 000000004444: D3CD0084 0E12C1E0
	buffer_load_dwordx4 a[176:179], v140, s[20:23], 0 offen offset:1024// 00000000444C: E05C1400 8085B08C
	v_mfma_f32_16x16x16_f16 v[132:135], a[226:227], v[98:99], v[132:135]// 000000004454: D3CD0084 0E12C5E2
	v_mfma_f32_16x16x16_f16 v[132:135], a[228:229], v[100:101], v[132:135]// 00000000445C: D3CD0084 0E12C9E4
	v_mfma_f32_16x16x16_f16 v[132:135], a[230:231], v[102:103], v[132:135]// 000000004464: D3CD0084 0E12CDE6
	v_mfma_f32_16x16x16_f16 v[132:135], a[232:233], v[104:105], v[132:135]// 00000000446C: D3CD0084 0E12D1E8
	buffer_load_dwordx4 a[180:183], v141, s[20:23], 0 offen offset:1024// 000000004474: E05C1400 8085B48D
	v_mfma_f32_16x16x16_f16 v[132:135], a[234:235], v[106:107], v[132:135]// 00000000447C: D3CD0084 0E12D5EA
	v_mfma_f32_16x16x16_f16 v[132:135], a[236:237], v[108:109], v[132:135]// 000000004484: D3CD0084 0E12D9EC
	v_mfma_f32_16x16x16_f16 v[132:135], a[238:239], v[110:111], v[132:135]// 00000000448C: D3CD0084 0E12DDEE
	v_mfma_f32_16x16x16_f16 v[132:135], a[240:241], v[112:113], v[132:135]// 000000004494: D3CD0084 0E12E1F0
	buffer_load_dwordx4 a[184:187], v142, s[20:23], 0 offen offset:1024// 00000000449C: E05C1400 8085B88E
	v_mfma_f32_16x16x16_f16 v[132:135], a[242:243], v[114:115], v[132:135]// 0000000044A4: D3CD0084 0E12E5F2
	v_mfma_f32_16x16x16_f16 v[132:135], a[244:245], v[116:117], v[132:135]// 0000000044AC: D3CD0084 0E12E9F4
	v_mfma_f32_16x16x16_f16 v[132:135], a[246:247], v[118:119], v[132:135]// 0000000044B4: D3CD0084 0E12EDF6
	v_mfma_f32_16x16x16_f16 v[132:135], a[248:249], v[120:121], v[132:135]// 0000000044BC: D3CD0084 0E12F1F8
	buffer_load_dwordx4 a[188:191], v143, s[20:23], 0 offen offset:1024// 0000000044C4: E05C1400 8085BC8F
	v_mfma_f32_16x16x16_f16 v[132:135], a[250:251], v[122:123], v[132:135]// 0000000044CC: D3CD0084 0E12F5FA
	v_mfma_f32_16x16x16_f16 v[132:135], a[252:253], v[124:125], v[132:135]// 0000000044D4: D3CD0084 0E12F9FC
	v_mfma_f32_16x16x16_f16 v[132:135], a[254:255], v[126:127], v[132:135]// 0000000044DC: D3CD0084 0E12FDFE
	s_lshr_b32 s60, s70, 4                                     // 0000000044E4: 8F3C8446
	s_add_u32 s60, 48, s60                                     // 0000000044E8: 803C3CB0
	s_cmp_ge_u32 s60, s73                                      // 0000000044EC: BF09493C
	s_cselect_b32 s56, 0, s56                                  // 0000000044F0: 85383880
	v_mul_u32_u24_dpp v38, v17, v51 row_newbcast:0 row_mask:0xf bank_mask:0xf// 0000000044F4: 104C66FA FF015011
	v_mul_u32_u24_dpp v39, v17, v51 row_newbcast:4 row_mask:0xf bank_mask:0xf// 0000000044FC: 104E66FA FF015411
	v_mul_u32_u24_dpp v40, v17, v51 row_newbcast:8 row_mask:0xf bank_mask:0xf// 000000004504: 105066FA FF015811
	v_mul_u32_u24_dpp v41, v17, v51 row_newbcast:12 row_mask:0xf bank_mask:0xf// 00000000450C: 105266FA FF015C11
	v_add_u32_e32 v26, v38, v6                                 // 000000004514: 68340D26
	v_add_u32_e32 v27, v39, v6                                 // 000000004518: 68360D27
	v_add_u32_e32 v28, v40, v6                                 // 00000000451C: 68380D28
	v_add_u32_e32 v29, v41, v6                                 // 000000004520: 683A0D29
	v_mul_u32_u24_dpp v38, v17, v51 row_newbcast:1 row_mask:0xf bank_mask:0xf// 000000004524: 104C66FA FF015111
	v_mul_u32_u24_dpp v39, v17, v51 row_newbcast:2 row_mask:0xf bank_mask:0xf// 00000000452C: 104E66FA FF015211
	v_mul_u32_u24_dpp v40, v17, v51 row_newbcast:5 row_mask:0xf bank_mask:0xf// 000000004534: 105066FA FF015511
	v_mul_u32_u24_dpp v41, v17, v51 row_newbcast:6 row_mask:0xf bank_mask:0xf// 00000000453C: 105266FA FF015611
	v_add_u32_e32 v144, v38, v7                                // 000000004544: 69200F26
	v_add_u32_e32 v145, v39, v7                                // 000000004548: 69220F27
	v_add_u32_e32 v146, v40, v7                                // 00000000454C: 69240F28
	v_add_u32_e32 v147, v41, v7                                // 000000004550: 69260F29
	v_mul_u32_u24_dpp v38, v17, v51 row_newbcast:9 row_mask:0xf bank_mask:0xf// 000000004554: 104C66FA FF015911
	v_mul_u32_u24_dpp v39, v17, v51 row_newbcast:10 row_mask:0xf bank_mask:0xf// 00000000455C: 104E66FA FF015A11
	v_mul_u32_u24_dpp v40, v17, v51 row_newbcast:13 row_mask:0xf bank_mask:0xf// 000000004564: 105066FA FF015D11
	v_mul_u32_u24_dpp v41, v17, v51 row_newbcast:7 row_mask:0xf bank_mask:0xf// 00000000456C: 105266FA FF015711
	v_add_u32_e32 v148, v38, v7                                // 000000004574: 69280F26
	v_add_u32_e32 v149, v39, v7                                // 000000004578: 692A0F27
	v_add_u32_e32 v150, v40, v7                                // 00000000457C: 692C0F28
	v_add_u32_e32 v151, v41, v7                                // 000000004580: 692E0F29
	v_add_u32_e32 v1, s56, v1                                  // 000000004584: 68020238
	s_addk_i32 s70, 0x100                                      // 000000004588: B7460100
	s_cmp_lt_i32 s70, s71                                      // 00000000458C: BF044746
	s_cbranch_scc0 label_0544                                  // 000000004590: BF84FC5F
	s_branch label_0547                                        // 000000004594: BF82FC61

0000000000004598 <label_08E6>:
	s_lshr_b32 s60, s71, 4                                     // 000000004598: 8F3C8447
	s_cmp_eq_i32 s60, s73                                      // 00000000459C: BF00493C
	s_cbranch_scc1 label_0C8F                                  // 0000000045A0: BF8503A6

00000000000045a4 <label_08E9>:
	s_lshr_b32 s60, s71, 8                                     // 0000000045A4: 8F3C8847
	s_and_b32 s60, s60, 1                                      // 0000000045A8: 863C813C
	s_cmp_eq_i32 s60, 1                                        // 0000000045AC: BF00813C
	s_cbranch_scc1 label_0ABE                                  // 0000000045B0: BF8501D1
	s_waitcnt vmcnt(16) lgkmcnt(0)                             // 0000000045B4: BF8C4070
	s_barrier                                                  // 0000000045B8: BF8A0000
	v_mfma_f32_16x16x16_f16 v[96:99], a[0:1], v[80:81], 0      // 0000000045BC: D3CD0060 0A02A100
	v_mfma_f32_16x16x16_f16 v[96:99], a[2:3], v[82:83], v[96:99]// 0000000045C4: D3CD0060 0D82A502
	v_mfma_f32_16x16x16_f16 v[96:99], a[4:5], v[84:85], v[96:99]// 0000000045CC: D3CD0060 0D82A904
	v_mfma_f32_16x16x16_f16 v[96:99], a[6:7], v[86:87], v[96:99]// 0000000045D4: D3CD0060 0D82AD06
	v_mfma_f32_16x16x16_f16 v[96:99], a[8:9], v[88:89], v[96:99]// 0000000045DC: D3CD0060 0D82B108
	v_mfma_f32_16x16x16_f16 v[96:99], a[10:11], v[90:91], v[96:99]// 0000000045E4: D3CD0060 0D82B50A
	v_mfma_f32_16x16x16_f16 v[96:99], a[12:13], v[92:93], v[96:99]// 0000000045EC: D3CD0060 0D82B90C
	v_mfma_f32_16x16x16_f16 v[96:99], a[14:15], v[94:95], v[96:99]// 0000000045F4: D3CD0060 0D82BD0E
	v_mfma_f32_16x16x16_f16 v[100:103], a[16:17], v[80:81], 0  // 0000000045FC: D3CD0064 0A02A110
	v_mfma_f32_16x16x16_f16 v[100:103], a[18:19], v[82:83], v[100:103]// 000000004604: D3CD0064 0D92A512
	v_mfma_f32_16x16x16_f16 v[100:103], a[20:21], v[84:85], v[100:103]// 00000000460C: D3CD0064 0D92A914
	v_mfma_f32_16x16x16_f16 v[100:103], a[22:23], v[86:87], v[100:103]// 000000004614: D3CD0064 0D92AD16
	v_mfma_f32_16x16x16_f16 v[100:103], a[24:25], v[88:89], v[100:103]// 00000000461C: D3CD0064 0D92B118
	v_mfma_f32_16x16x16_f16 v[100:103], a[26:27], v[90:91], v[100:103]// 000000004624: D3CD0064 0D92B51A
	v_mfma_f32_16x16x16_f16 v[100:103], a[28:29], v[92:93], v[100:103]// 00000000462C: D3CD0064 0D92B91C
	v_mfma_f32_16x16x16_f16 v[100:103], a[30:31], v[94:95], v[100:103]// 000000004634: D3CD0064 0D92BD1E
	v_mfma_f32_16x16x16_f16 v[104:107], a[32:33], v[80:81], 0  // 00000000463C: D3CD0068 0A02A120
	v_mfma_f32_16x16x16_f16 v[104:107], a[34:35], v[82:83], v[104:107]// 000000004644: D3CD0068 0DA2A522
	v_mfma_f32_16x16x16_f16 v[104:107], a[36:37], v[84:85], v[104:107]// 00000000464C: D3CD0068 0DA2A924
	v_mfma_f32_16x16x16_f16 v[104:107], a[38:39], v[86:87], v[104:107]// 000000004654: D3CD0068 0DA2AD26
	v_mfma_f32_16x16x16_f16 v[104:107], a[40:41], v[88:89], v[104:107]// 00000000465C: D3CD0068 0DA2B128
	v_mfma_f32_16x16x16_f16 v[104:107], a[42:43], v[90:91], v[104:107]// 000000004664: D3CD0068 0DA2B52A
	v_mfma_f32_16x16x16_f16 v[104:107], a[44:45], v[92:93], v[104:107]// 00000000466C: D3CD0068 0DA2B92C
	v_mfma_f32_16x16x16_f16 v[104:107], a[46:47], v[94:95], v[104:107]// 000000004674: D3CD0068 0DA2BD2E
	v_mfma_f32_16x16x16_f16 v[108:111], a[48:49], v[80:81], 0  // 00000000467C: D3CD006C 0A02A130
	v_mfma_f32_16x16x16_f16 v[108:111], a[50:51], v[82:83], v[108:111]// 000000004684: D3CD006C 0DB2A532
	v_mfma_f32_16x16x16_f16 v[108:111], a[52:53], v[84:85], v[108:111]// 00000000468C: D3CD006C 0DB2A934
	v_mfma_f32_16x16x16_f16 v[108:111], a[54:55], v[86:87], v[108:111]// 000000004694: D3CD006C 0DB2AD36
	v_mfma_f32_16x16x16_f16 v[108:111], a[56:57], v[88:89], v[108:111]// 00000000469C: D3CD006C 0DB2B138
	v_mfma_f32_16x16x16_f16 v[108:111], a[58:59], v[90:91], v[108:111]// 0000000046A4: D3CD006C 0DB2B53A
	v_mfma_f32_16x16x16_f16 v[108:111], a[60:61], v[92:93], v[108:111]// 0000000046AC: D3CD006C 0DB2B93C
	v_mfma_f32_16x16x16_f16 v[108:111], a[62:63], v[94:95], v[108:111]// 0000000046B4: D3CD006C 0DB2BD3E
	s_nop 8                                                    // 0000000046BC: BF800008
	s_and_b32 s60, s72, 0xff                                   // 0000000046C0: 863CFF48 000000FF
	v_mov_b32_e32 v53, s60                                     // 0000000046C8: 7E6A023C
	v_lshrrev_b32_e32 v30, 4, v0                               // 0000000046CC: 203C0084
	v_mul_i32_i24_e32 v30, 4, v30                              // 0000000046D0: 0C3C3C84
	s_mul_i32 s60, s7, 16                                      // 0000000046D4: 923C9007
	v_add_u32_e32 v30, s60, v30                                // 0000000046D8: 683C3C3C
	v_add_u32_e32 v31, 1, v30                                  // 0000000046DC: 683E3C81
	v_add_u32_e32 v32, 2, v30                                  // 0000000046E0: 68403C82
	v_add_u32_e32 v33, 3, v30                                  // 0000000046E4: 68423C83
	v_mov_b32_e32 v38, v52                                     // 0000000046E8: 7E4C0334
	v_cmp_lt_u32_e64 s[40:41], v30, v53                        // 0000000046EC: D0C90028 00026B1E
	v_add_u32_e32 v30, 64, v30                                 // 0000000046F4: 683C3CC0
	s_nop 0                                                    // 0000000046F8: BF800000
	v_cndmask_b32_e64 v96, v38, v96, s[40:41]                  // 0000000046FC: D1000060 00A2C126
	v_cmp_lt_u32_e64 s[40:41], v31, v53                        // 000000004704: D0C90028 00026B1F
	v_add_u32_e32 v31, 64, v31                                 // 00000000470C: 683E3EC0
	s_nop 0                                                    // 000000004710: BF800000
	v_cndmask_b32_e64 v97, v38, v97, s[40:41]                  // 000000004714: D1000061 00A2C326
	v_cmp_lt_u32_e64 s[40:41], v32, v53                        // 00000000471C: D0C90028 00026B20
	v_add_u32_e32 v32, 64, v32                                 // 000000004724: 684040C0
	s_nop 0                                                    // 000000004728: BF800000
	v_cndmask_b32_e64 v98, v38, v98, s[40:41]                  // 00000000472C: D1000062 00A2C526
	v_cmp_lt_u32_e64 s[40:41], v33, v53                        // 000000004734: D0C90028 00026B21
	v_add_u32_e32 v33, 64, v33                                 // 00000000473C: 684242C0
	s_nop 0                                                    // 000000004740: BF800000
	v_cndmask_b32_e64 v99, v38, v99, s[40:41]                  // 000000004744: D1000063 00A2C726
	v_cmp_lt_u32_e64 s[40:41], v30, v53                        // 00000000474C: D0C90028 00026B1E
	v_add_u32_e32 v30, 64, v30                                 // 000000004754: 683C3CC0
	s_nop 0                                                    // 000000004758: BF800000
	v_cndmask_b32_e64 v100, v38, v100, s[40:41]                // 00000000475C: D1000064 00A2C926
	v_cmp_lt_u32_e64 s[40:41], v31, v53                        // 000000004764: D0C90028 00026B1F
	v_add_u32_e32 v31, 64, v31                                 // 00000000476C: 683E3EC0
	s_nop 0                                                    // 000000004770: BF800000
	v_cndmask_b32_e64 v101, v38, v101, s[40:41]                // 000000004774: D1000065 00A2CB26
	v_cmp_lt_u32_e64 s[40:41], v32, v53                        // 00000000477C: D0C90028 00026B20
	v_add_u32_e32 v32, 64, v32                                 // 000000004784: 684040C0
	s_nop 0                                                    // 000000004788: BF800000
	v_cndmask_b32_e64 v102, v38, v102, s[40:41]                // 00000000478C: D1000066 00A2CD26
	v_cmp_lt_u32_e64 s[40:41], v33, v53                        // 000000004794: D0C90028 00026B21
	v_add_u32_e32 v33, 64, v33                                 // 00000000479C: 684242C0
	s_nop 0                                                    // 0000000047A0: BF800000
	v_cndmask_b32_e64 v103, v38, v103, s[40:41]                // 0000000047A4: D1000067 00A2CF26
	v_cmp_lt_u32_e64 s[40:41], v30, v53                        // 0000000047AC: D0C90028 00026B1E
	v_add_u32_e32 v30, 64, v30                                 // 0000000047B4: 683C3CC0
	s_nop 0                                                    // 0000000047B8: BF800000
	v_cndmask_b32_e64 v104, v38, v104, s[40:41]                // 0000000047BC: D1000068 00A2D126
	v_cmp_lt_u32_e64 s[40:41], v31, v53                        // 0000000047C4: D0C90028 00026B1F
	v_add_u32_e32 v31, 64, v31                                 // 0000000047CC: 683E3EC0
	s_nop 0                                                    // 0000000047D0: BF800000
	v_cndmask_b32_e64 v105, v38, v105, s[40:41]                // 0000000047D4: D1000069 00A2D326
	v_cmp_lt_u32_e64 s[40:41], v32, v53                        // 0000000047DC: D0C90028 00026B20
	v_add_u32_e32 v32, 64, v32                                 // 0000000047E4: 684040C0
	s_nop 0                                                    // 0000000047E8: BF800000
	v_cndmask_b32_e64 v106, v38, v106, s[40:41]                // 0000000047EC: D100006A 00A2D526
	v_cmp_lt_u32_e64 s[40:41], v33, v53                        // 0000000047F4: D0C90028 00026B21
	v_add_u32_e32 v33, 64, v33                                 // 0000000047FC: 684242C0
	s_nop 0                                                    // 000000004800: BF800000
	v_cndmask_b32_e64 v107, v38, v107, s[40:41]                // 000000004804: D100006B 00A2D726
	v_cmp_lt_u32_e64 s[40:41], v30, v53                        // 00000000480C: D0C90028 00026B1E
	v_add_u32_e32 v30, 64, v30                                 // 000000004814: 683C3CC0
	s_nop 0                                                    // 000000004818: BF800000
	v_cndmask_b32_e64 v108, v38, v108, s[40:41]                // 00000000481C: D100006C 00A2D926
	v_cmp_lt_u32_e64 s[40:41], v31, v53                        // 000000004824: D0C90028 00026B1F
	v_add_u32_e32 v31, 64, v31                                 // 00000000482C: 683E3EC0
	s_nop 0                                                    // 000000004830: BF800000
	v_cndmask_b32_e64 v109, v38, v109, s[40:41]                // 000000004834: D100006D 00A2DB26
	v_cmp_lt_u32_e64 s[40:41], v32, v53                        // 00000000483C: D0C90028 00026B20
	v_add_u32_e32 v32, 64, v32                                 // 000000004844: 684040C0
	s_nop 0                                                    // 000000004848: BF800000
	v_cndmask_b32_e64 v110, v38, v110, s[40:41]                // 00000000484C: D100006E 00A2DD26
	v_cmp_lt_u32_e64 s[40:41], v33, v53                        // 000000004854: D0C90028 00026B21
	v_add_u32_e32 v33, 64, v33                                 // 00000000485C: 684242C0
	s_nop 0                                                    // 000000004860: BF800000
	v_cndmask_b32_e64 v111, v38, v111, s[40:41]                // 000000004864: D100006F 00A2DF26
	s_nop 8                                                    // 00000000486C: BF800008
	v_mov_b32_e32 v48, v96                                     // 000000004870: 7E600360
	v_max3_f32 v48, v96, v97, v48                              // 000000004874: D1D30030 04C2C360
	v_max3_f32 v48, v98, v99, v48                              // 00000000487C: D1D30030 04C2C762
	v_max3_f32 v48, v100, v101, v48                            // 000000004884: D1D30030 04C2CB64
	v_max3_f32 v48, v102, v103, v48                            // 00000000488C: D1D30030 04C2CF66
	v_max3_f32 v48, v104, v105, v48                            // 000000004894: D1D30030 04C2D368
	v_max3_f32 v48, v106, v107, v48                            // 00000000489C: D1D30030 04C2D76A
	v_max3_f32 v48, v108, v109, v48                            // 0000000048A4: D1D30030 04C2DB6C
	v_max3_f32 v48, v110, v111, v48                            // 0000000048AC: D1D30030 04C2DF6E
	ds_write_b32 v11, v48 offset:4224                          // 0000000048B4: D81A1080 0000300B
	s_waitcnt lgkmcnt(0)                                       // 0000000048BC: BF8CC07F
	s_barrier                                                  // 0000000048C0: BF8A0000
	ds_read_b32 v64, v10 offset:4224                           // 0000000048C4: D86C1080 4000000A
	ds_read_b32 v65, v10 offset:4288                           // 0000000048CC: D86C10C0 4100000A
	ds_read_b32 v66, v10 offset:4352                           // 0000000048D4: D86C1100 4200000A
	ds_read_b32 v67, v10 offset:4416                           // 0000000048DC: D86C1140 4300000A
	ds_read_b32 v68, v10 offset:4480                           // 0000000048E4: D86C1180 4400000A
	ds_read_b32 v69, v10 offset:4544                           // 0000000048EC: D86C11C0 4500000A
	ds_read_b32 v70, v10 offset:4608                           // 0000000048F4: D86C1200 4600000A
	ds_read_b32 v71, v10 offset:4672                           // 0000000048FC: D86C1240 4700000A
	ds_read_b32 v72, v10 offset:4736                           // 000000004904: D86C1280 4800000A
	ds_read_b32 v73, v10 offset:4800                           // 00000000490C: D86C12C0 4900000A
	ds_read_b32 v74, v10 offset:4864                           // 000000004914: D86C1300 4A00000A
	ds_read_b32 v75, v10 offset:4928                           // 00000000491C: D86C1340 4B00000A
	ds_read_b32 v76, v10 offset:4992                           // 000000004924: D86C1380 4C00000A
	ds_read_b32 v77, v10 offset:5056                           // 00000000492C: D86C13C0 4D00000A
	ds_read_b32 v78, v10 offset:5120                           // 000000004934: D86C1400 4E00000A
	ds_read_b32 v79, v10 offset:5184                           // 00000000493C: D86C1440 4F00000A
	s_waitcnt lgkmcnt(0)                                       // 000000004944: BF8CC07F
	v_max3_f32 v48, v64, v65, v48                              // 000000004948: D1D30030 04C28340
	v_max3_f32 v48, v66, v67, v48                              // 000000004950: D1D30030 04C28742
	v_max3_f32 v48, v68, v69, v48                              // 000000004958: D1D30030 04C28B44
	v_max3_f32 v48, v70, v71, v48                              // 000000004960: D1D30030 04C28F46
	v_max3_f32 v48, v72, v73, v48                              // 000000004968: D1D30030 04C29348
	v_max3_f32 v48, v74, v75, v48                              // 000000004970: D1D30030 04C2974A
	v_max3_f32 v48, v76, v77, v48                              // 000000004978: D1D30030 04C29B4C
	v_max3_f32 v48, v78, v79, v48                              // 000000004980: D1D30030 04C29F4E
	v_cmp_eq_u32_e64 s[40:41], v52, v14                        // 000000004988: D0CA0028 00021D34
	s_nop 1                                                    // 000000004990: BF800001
	v_max_f32_e32 v15, v48, v14                                // 000000004994: 161E1D30
	v_sub_f32_e32 v49, v14, v15                                // 000000004998: 04621F0E
	v_cndmask_b32_e64 v49, v49, 0, s[40:41]                    // 00000000499C: D1000031 00A10131
	v_mov_b32_e32 v14, v15                                     // 0000000049A4: 7E1C030F
	v_mul_f32_e32 v50, s64, v15                                // 0000000049A8: 0A641E40
	v_mul_f32_e32 v49, s64, v49                                // 0000000049AC: 0A626240
	v_exp_f32_e32 v49, v49                                     // 0000000049B0: 7E624131
	v_fma_f32 v96, v96, s64, -v50                              // 0000000049B4: D1CB0060 84C88160
	v_fma_f32 v97, v97, s64, -v50                              // 0000000049BC: D1CB0061 84C88161
	v_fma_f32 v98, v98, s64, -v50                              // 0000000049C4: D1CB0062 84C88162
	v_fma_f32 v99, v99, s64, -v50                              // 0000000049CC: D1CB0063 84C88163
	v_fma_f32 v100, v100, s64, -v50                            // 0000000049D4: D1CB0064 84C88164
	v_fma_f32 v101, v101, s64, -v50                            // 0000000049DC: D1CB0065 84C88165
	v_fma_f32 v102, v102, s64, -v50                            // 0000000049E4: D1CB0066 84C88166
	v_fma_f32 v103, v103, s64, -v50                            // 0000000049EC: D1CB0067 84C88167
	v_fma_f32 v104, v104, s64, -v50                            // 0000000049F4: D1CB0068 84C88168
	v_fma_f32 v105, v105, s64, -v50                            // 0000000049FC: D1CB0069 84C88169
	v_fma_f32 v106, v106, s64, -v50                            // 000000004A04: D1CB006A 84C8816A
	v_fma_f32 v107, v107, s64, -v50                            // 000000004A0C: D1CB006B 84C8816B
	v_fma_f32 v108, v108, s64, -v50                            // 000000004A14: D1CB006C 84C8816C
	v_fma_f32 v109, v109, s64, -v50                            // 000000004A1C: D1CB006D 84C8816D
	v_fma_f32 v110, v110, s64, -v50                            // 000000004A24: D1CB006E 84C8816E
	v_fma_f32 v111, v111, s64, -v50                            // 000000004A2C: D1CB006F 84C8816F
	v_exp_f32_e32 v96, v96                                     // 000000004A34: 7EC04160
	v_exp_f32_e32 v97, v97                                     // 000000004A38: 7EC24161
	v_exp_f32_e32 v98, v98                                     // 000000004A3C: 7EC44162
	v_exp_f32_e32 v99, v99                                     // 000000004A40: 7EC64163
	v_exp_f32_e32 v100, v100                                   // 000000004A44: 7EC84164
	v_exp_f32_e32 v101, v101                                   // 000000004A48: 7ECA4165
	v_exp_f32_e32 v102, v102                                   // 000000004A4C: 7ECC4166
	v_exp_f32_e32 v103, v103                                   // 000000004A50: 7ECE4167
	v_exp_f32_e32 v104, v104                                   // 000000004A54: 7ED04168
	v_exp_f32_e32 v105, v105                                   // 000000004A58: 7ED24169
	v_exp_f32_e32 v106, v106                                   // 000000004A5C: 7ED4416A
	v_exp_f32_e32 v107, v107                                   // 000000004A60: 7ED6416B
	v_exp_f32_e32 v108, v108                                   // 000000004A64: 7ED8416C
	v_exp_f32_e32 v109, v109                                   // 000000004A68: 7EDA416D
	v_exp_f32_e32 v110, v110                                   // 000000004A6C: 7EDC416E
	v_exp_f32_e32 v111, v111                                   // 000000004A70: 7EDE416F
	v_mul_f32_e32 v42, v49, v42                                // 000000004A74: 0A545531
	v_mov_b32_e32 v43, v96                                     // 000000004A78: 7E560360
	v_add_f32_e32 v43, v97, v43                                // 000000004A7C: 02565761
	v_add_f32_e32 v43, v98, v43                                // 000000004A80: 02565762
	v_add_f32_e32 v43, v99, v43                                // 000000004A84: 02565763
	v_add_f32_e32 v43, v100, v43                               // 000000004A88: 02565764
	v_add_f32_e32 v43, v101, v43                               // 000000004A8C: 02565765
	v_add_f32_e32 v43, v102, v43                               // 000000004A90: 02565766
	v_add_f32_e32 v43, v103, v43                               // 000000004A94: 02565767
	v_add_f32_e32 v43, v104, v43                               // 000000004A98: 02565768
	v_add_f32_e32 v43, v105, v43                               // 000000004A9C: 02565769
	v_add_f32_e32 v43, v106, v43                               // 000000004AA0: 0256576A
	v_add_f32_e32 v43, v107, v43                               // 000000004AA4: 0256576B
	v_add_f32_e32 v43, v108, v43                               // 000000004AA8: 0256576C
	v_add_f32_e32 v43, v109, v43                               // 000000004AAC: 0256576D
	v_add_f32_e32 v43, v110, v43                               // 000000004AB0: 0256576E
	v_add_f32_e32 v43, v111, v43                               // 000000004AB4: 0256576F
	v_add_f32_e32 v42, v43, v42                                // 000000004AB8: 0254552B
	v_cvt_pkrtz_f16_f32 v38, v96, v97                          // 000000004ABC: D2960026 0002C360
	v_mov_b32_e32 v96, v38                                     // 000000004AC4: 7EC00326
	v_cvt_pkrtz_f16_f32 v38, v98, v99                          // 000000004AC8: D2960026 0002C762
	v_mov_b32_e32 v97, v38                                     // 000000004AD0: 7EC20326
	v_cvt_pkrtz_f16_f32 v38, v100, v101                        // 000000004AD4: D2960026 0002CB64
	v_mov_b32_e32 v98, v38                                     // 000000004ADC: 7EC40326
	v_cvt_pkrtz_f16_f32 v38, v102, v103                        // 000000004AE0: D2960026 0002CF66
	v_mov_b32_e32 v99, v38                                     // 000000004AE8: 7EC60326
	v_cvt_pkrtz_f16_f32 v38, v104, v105                        // 000000004AEC: D2960026 0002D368
	v_mov_b32_e32 v100, v38                                    // 000000004AF4: 7EC80326
	v_cvt_pkrtz_f16_f32 v38, v106, v107                        // 000000004AF8: D2960026 0002D76A
	v_mov_b32_e32 v101, v38                                    // 000000004B00: 7ECA0326
	v_cvt_pkrtz_f16_f32 v38, v108, v109                        // 000000004B04: D2960026 0002DB6C
	v_mov_b32_e32 v102, v38                                    // 000000004B0C: 7ECC0326
	v_cvt_pkrtz_f16_f32 v38, v110, v111                        // 000000004B10: D2960026 0002DF6E
	v_mov_b32_e32 v103, v38                                    // 000000004B18: 7ECE0326
	ds_write_b64 v13, v[96:97] offset:5248                     // 000000004B1C: D89A1480 0000600D
	ds_write_b64 v13, v[98:99] offset:7296                     // 000000004B24: D89A1C80 0000620D
	ds_write_b64 v13, v[100:101] offset:9344                   // 000000004B2C: D89A2480 0000640D
	ds_write_b64 v13, v[102:103] offset:11392                  // 000000004B34: D89A2C80 0000660D
	s_waitcnt lgkmcnt(0)                                       // 000000004B3C: BF8CC07F
	s_barrier                                                  // 000000004B40: BF8A0000
	ds_read_b64 v[96:97], v12 offset:5248                      // 000000004B44: D8EC1480 6000000C
	ds_read_b64 v[98:99], v12 offset:5376                      // 000000004B4C: D8EC1500 6200000C
	ds_read_b64 v[100:101], v12 offset:6272                    // 000000004B54: D8EC1880 6400000C
	ds_read_b64 v[102:103], v12 offset:6400                    // 000000004B5C: D8EC1900 6600000C
	ds_read_b64 v[104:105], v12 offset:7296                    // 000000004B64: D8EC1C80 6800000C
	ds_read_b64 v[106:107], v12 offset:7424                    // 000000004B6C: D8EC1D00 6A00000C
	ds_read_b64 v[108:109], v12 offset:8320                    // 000000004B74: D8EC2080 6C00000C
	ds_read_b64 v[110:111], v12 offset:8448                    // 000000004B7C: D8EC2100 6E00000C
	ds_read_b64 v[112:113], v12 offset:9344                    // 000000004B84: D8EC2480 7000000C
	ds_read_b64 v[114:115], v12 offset:9472                    // 000000004B8C: D8EC2500 7200000C
	ds_read_b64 v[116:117], v12 offset:10368                   // 000000004B94: D8EC2880 7400000C
	ds_read_b64 v[118:119], v12 offset:10496                   // 000000004B9C: D8EC2900 7600000C
	ds_read_b64 v[120:121], v12 offset:11392                   // 000000004BA4: D8EC2C80 7800000C
	ds_read_b64 v[122:123], v12 offset:11520                   // 000000004BAC: D8EC2D00 7A00000C
	ds_read_b64 v[124:125], v12 offset:12416                   // 000000004BB4: D8EC3080 7C00000C
	ds_read_b64 v[126:127], v12 offset:12544                   // 000000004BBC: D8EC3100 7E00000C
	s_waitcnt lgkmcnt(0)                                       // 000000004BC4: BF8CC07F
	v_mul_f32_e32 v128, v49, v128                              // 000000004BC8: 0B010131
	v_mul_f32_e32 v129, v49, v129                              // 000000004BCC: 0B030331
	v_mul_f32_e32 v130, v49, v130                              // 000000004BD0: 0B050531
	v_mul_f32_e32 v131, v49, v131                              // 000000004BD4: 0B070731
	v_mul_f32_e32 v132, v49, v132                              // 000000004BD8: 0B090931
	v_mul_f32_e32 v133, v49, v133                              // 000000004BDC: 0B0B0B31
	v_mul_f32_e32 v134, v49, v134                              // 000000004BE0: 0B0D0D31
	v_mul_f32_e32 v135, v49, v135                              // 000000004BE4: 0B0F0F31
	s_waitcnt vmcnt(0)                                         // 000000004BE8: BF8C0F70
	s_barrier                                                  // 000000004BEC: BF8A0000
	v_mfma_f32_16x16x16_f16 v[128:131], a[128:129], v[96:97], v[128:131]// 000000004BF0: D3CD0080 0E02C180
	v_mfma_f32_16x16x16_f16 v[128:131], a[130:131], v[98:99], v[128:131]// 000000004BF8: D3CD0080 0E02C582
	v_mfma_f32_16x16x16_f16 v[128:131], a[132:133], v[100:101], v[128:131]// 000000004C00: D3CD0080 0E02C984
	v_mfma_f32_16x16x16_f16 v[128:131], a[134:135], v[102:103], v[128:131]// 000000004C08: D3CD0080 0E02CD86
	v_mfma_f32_16x16x16_f16 v[128:131], a[136:137], v[104:105], v[128:131]// 000000004C10: D3CD0080 0E02D188
	v_mfma_f32_16x16x16_f16 v[128:131], a[138:139], v[106:107], v[128:131]// 000000004C18: D3CD0080 0E02D58A
	v_mfma_f32_16x16x16_f16 v[128:131], a[140:141], v[108:109], v[128:131]// 000000004C20: D3CD0080 0E02D98C
	v_mfma_f32_16x16x16_f16 v[128:131], a[142:143], v[110:111], v[128:131]// 000000004C28: D3CD0080 0E02DD8E
	v_mfma_f32_16x16x16_f16 v[128:131], a[144:145], v[112:113], v[128:131]// 000000004C30: D3CD0080 0E02E190
	v_mfma_f32_16x16x16_f16 v[128:131], a[146:147], v[114:115], v[128:131]// 000000004C38: D3CD0080 0E02E592
	v_mfma_f32_16x16x16_f16 v[128:131], a[148:149], v[116:117], v[128:131]// 000000004C40: D3CD0080 0E02E994
	v_mfma_f32_16x16x16_f16 v[128:131], a[150:151], v[118:119], v[128:131]// 000000004C48: D3CD0080 0E02ED96
	v_mfma_f32_16x16x16_f16 v[128:131], a[152:153], v[120:121], v[128:131]// 000000004C50: D3CD0080 0E02F198
	v_mfma_f32_16x16x16_f16 v[128:131], a[154:155], v[122:123], v[128:131]// 000000004C58: D3CD0080 0E02F59A
	v_mfma_f32_16x16x16_f16 v[128:131], a[156:157], v[124:125], v[128:131]// 000000004C60: D3CD0080 0E02F99C
	v_mfma_f32_16x16x16_f16 v[128:131], a[158:159], v[126:127], v[128:131]// 000000004C68: D3CD0080 0E02FD9E
	v_mfma_f32_16x16x16_f16 v[132:135], a[160:161], v[96:97], v[132:135]// 000000004C70: D3CD0084 0E12C1A0
	v_mfma_f32_16x16x16_f16 v[132:135], a[162:163], v[98:99], v[132:135]// 000000004C78: D3CD0084 0E12C5A2
	v_mfma_f32_16x16x16_f16 v[132:135], a[164:165], v[100:101], v[132:135]// 000000004C80: D3CD0084 0E12C9A4
	v_mfma_f32_16x16x16_f16 v[132:135], a[166:167], v[102:103], v[132:135]// 000000004C88: D3CD0084 0E12CDA6
	v_mfma_f32_16x16x16_f16 v[132:135], a[168:169], v[104:105], v[132:135]// 000000004C90: D3CD0084 0E12D1A8
	v_mfma_f32_16x16x16_f16 v[132:135], a[170:171], v[106:107], v[132:135]// 000000004C98: D3CD0084 0E12D5AA
	v_mfma_f32_16x16x16_f16 v[132:135], a[172:173], v[108:109], v[132:135]// 000000004CA0: D3CD0084 0E12D9AC
	v_mfma_f32_16x16x16_f16 v[132:135], a[174:175], v[110:111], v[132:135]// 000000004CA8: D3CD0084 0E12DDAE
	v_mfma_f32_16x16x16_f16 v[132:135], a[176:177], v[112:113], v[132:135]// 000000004CB0: D3CD0084 0E12E1B0
	v_mfma_f32_16x16x16_f16 v[132:135], a[178:179], v[114:115], v[132:135]// 000000004CB8: D3CD0084 0E12E5B2
	v_mfma_f32_16x16x16_f16 v[132:135], a[180:181], v[116:117], v[132:135]// 000000004CC0: D3CD0084 0E12E9B4
	v_mfma_f32_16x16x16_f16 v[132:135], a[182:183], v[118:119], v[132:135]// 000000004CC8: D3CD0084 0E12EDB6
	v_mfma_f32_16x16x16_f16 v[132:135], a[184:185], v[120:121], v[132:135]// 000000004CD0: D3CD0084 0E12F1B8
	v_mfma_f32_16x16x16_f16 v[132:135], a[186:187], v[122:123], v[132:135]// 000000004CD8: D3CD0084 0E12F5BA
	v_mfma_f32_16x16x16_f16 v[132:135], a[188:189], v[124:125], v[132:135]// 000000004CE0: D3CD0084 0E12F9BC
	v_mfma_f32_16x16x16_f16 v[132:135], a[190:191], v[126:127], v[132:135]// 000000004CE8: D3CD0084 0E12FDBE
	s_nop 8                                                    // 000000004CF0: BF800008
	s_branch label_0C8F                                        // 000000004CF4: BF8201D1

0000000000004cf8 <label_0ABE>:
	s_waitcnt vmcnt(16) lgkmcnt(0)                             // 000000004CF8: BF8C4070
	s_barrier                                                  // 000000004CFC: BF8A0000
	v_mfma_f32_16x16x16_f16 v[96:99], a[64:65], v[80:81], 0    // 000000004D00: D3CD0060 0A02A140
	v_mfma_f32_16x16x16_f16 v[96:99], a[66:67], v[82:83], v[96:99]// 000000004D08: D3CD0060 0D82A542
	v_mfma_f32_16x16x16_f16 v[96:99], a[68:69], v[84:85], v[96:99]// 000000004D10: D3CD0060 0D82A944
	v_mfma_f32_16x16x16_f16 v[96:99], a[70:71], v[86:87], v[96:99]// 000000004D18: D3CD0060 0D82AD46
	v_mfma_f32_16x16x16_f16 v[96:99], a[72:73], v[88:89], v[96:99]// 000000004D20: D3CD0060 0D82B148
	v_mfma_f32_16x16x16_f16 v[96:99], a[74:75], v[90:91], v[96:99]// 000000004D28: D3CD0060 0D82B54A
	v_mfma_f32_16x16x16_f16 v[96:99], a[76:77], v[92:93], v[96:99]// 000000004D30: D3CD0060 0D82B94C
	v_mfma_f32_16x16x16_f16 v[96:99], a[78:79], v[94:95], v[96:99]// 000000004D38: D3CD0060 0D82BD4E
	v_mfma_f32_16x16x16_f16 v[100:103], a[80:81], v[80:81], 0  // 000000004D40: D3CD0064 0A02A150
	v_mfma_f32_16x16x16_f16 v[100:103], a[82:83], v[82:83], v[100:103]// 000000004D48: D3CD0064 0D92A552
	v_mfma_f32_16x16x16_f16 v[100:103], a[84:85], v[84:85], v[100:103]// 000000004D50: D3CD0064 0D92A954
	v_mfma_f32_16x16x16_f16 v[100:103], a[86:87], v[86:87], v[100:103]// 000000004D58: D3CD0064 0D92AD56
	v_mfma_f32_16x16x16_f16 v[100:103], a[88:89], v[88:89], v[100:103]// 000000004D60: D3CD0064 0D92B158
	v_mfma_f32_16x16x16_f16 v[100:103], a[90:91], v[90:91], v[100:103]// 000000004D68: D3CD0064 0D92B55A
	v_mfma_f32_16x16x16_f16 v[100:103], a[92:93], v[92:93], v[100:103]// 000000004D70: D3CD0064 0D92B95C
	v_mfma_f32_16x16x16_f16 v[100:103], a[94:95], v[94:95], v[100:103]// 000000004D78: D3CD0064 0D92BD5E
	v_mfma_f32_16x16x16_f16 v[104:107], a[96:97], v[80:81], 0  // 000000004D80: D3CD0068 0A02A160
	v_mfma_f32_16x16x16_f16 v[104:107], a[98:99], v[82:83], v[104:107]// 000000004D88: D3CD0068 0DA2A562
	v_mfma_f32_16x16x16_f16 v[104:107], a[100:101], v[84:85], v[104:107]// 000000004D90: D3CD0068 0DA2A964
	v_mfma_f32_16x16x16_f16 v[104:107], a[102:103], v[86:87], v[104:107]// 000000004D98: D3CD0068 0DA2AD66
	v_mfma_f32_16x16x16_f16 v[104:107], a[104:105], v[88:89], v[104:107]// 000000004DA0: D3CD0068 0DA2B168
	v_mfma_f32_16x16x16_f16 v[104:107], a[106:107], v[90:91], v[104:107]// 000000004DA8: D3CD0068 0DA2B56A
	v_mfma_f32_16x16x16_f16 v[104:107], a[108:109], v[92:93], v[104:107]// 000000004DB0: D3CD0068 0DA2B96C
	v_mfma_f32_16x16x16_f16 v[104:107], a[110:111], v[94:95], v[104:107]// 000000004DB8: D3CD0068 0DA2BD6E
	v_mfma_f32_16x16x16_f16 v[108:111], a[112:113], v[80:81], 0// 000000004DC0: D3CD006C 0A02A170
	v_mfma_f32_16x16x16_f16 v[108:111], a[114:115], v[82:83], v[108:111]// 000000004DC8: D3CD006C 0DB2A572
	v_mfma_f32_16x16x16_f16 v[108:111], a[116:117], v[84:85], v[108:111]// 000000004DD0: D3CD006C 0DB2A974
	v_mfma_f32_16x16x16_f16 v[108:111], a[118:119], v[86:87], v[108:111]// 000000004DD8: D3CD006C 0DB2AD76
	v_mfma_f32_16x16x16_f16 v[108:111], a[120:121], v[88:89], v[108:111]// 000000004DE0: D3CD006C 0DB2B178
	v_mfma_f32_16x16x16_f16 v[108:111], a[122:123], v[90:91], v[108:111]// 000000004DE8: D3CD006C 0DB2B57A
	v_mfma_f32_16x16x16_f16 v[108:111], a[124:125], v[92:93], v[108:111]// 000000004DF0: D3CD006C 0DB2B97C
	v_mfma_f32_16x16x16_f16 v[108:111], a[126:127], v[94:95], v[108:111]// 000000004DF8: D3CD006C 0DB2BD7E
	s_nop 8                                                    // 000000004E00: BF800008
	s_and_b32 s60, s72, 0xff                                   // 000000004E04: 863CFF48 000000FF
	v_mov_b32_e32 v53, s60                                     // 000000004E0C: 7E6A023C
	v_lshrrev_b32_e32 v30, 4, v0                               // 000000004E10: 203C0084
	v_mul_i32_i24_e32 v30, 4, v30                              // 000000004E14: 0C3C3C84
	s_mul_i32 s60, s7, 16                                      // 000000004E18: 923C9007
	v_add_u32_e32 v30, s60, v30                                // 000000004E1C: 683C3C3C
	v_add_u32_e32 v31, 1, v30                                  // 000000004E20: 683E3C81
	v_add_u32_e32 v32, 2, v30                                  // 000000004E24: 68403C82
	v_add_u32_e32 v33, 3, v30                                  // 000000004E28: 68423C83
	v_mov_b32_e32 v38, v52                                     // 000000004E2C: 7E4C0334
	v_cmp_lt_u32_e64 s[40:41], v30, v53                        // 000000004E30: D0C90028 00026B1E
	v_add_u32_e32 v30, 64, v30                                 // 000000004E38: 683C3CC0
	s_nop 0                                                    // 000000004E3C: BF800000
	v_cndmask_b32_e64 v96, v38, v96, s[40:41]                  // 000000004E40: D1000060 00A2C126
	v_cmp_lt_u32_e64 s[40:41], v31, v53                        // 000000004E48: D0C90028 00026B1F
	v_add_u32_e32 v31, 64, v31                                 // 000000004E50: 683E3EC0
	s_nop 0                                                    // 000000004E54: BF800000
	v_cndmask_b32_e64 v97, v38, v97, s[40:41]                  // 000000004E58: D1000061 00A2C326
	v_cmp_lt_u32_e64 s[40:41], v32, v53                        // 000000004E60: D0C90028 00026B20
	v_add_u32_e32 v32, 64, v32                                 // 000000004E68: 684040C0
	s_nop 0                                                    // 000000004E6C: BF800000
	v_cndmask_b32_e64 v98, v38, v98, s[40:41]                  // 000000004E70: D1000062 00A2C526
	v_cmp_lt_u32_e64 s[40:41], v33, v53                        // 000000004E78: D0C90028 00026B21
	v_add_u32_e32 v33, 64, v33                                 // 000000004E80: 684242C0
	s_nop 0                                                    // 000000004E84: BF800000
	v_cndmask_b32_e64 v99, v38, v99, s[40:41]                  // 000000004E88: D1000063 00A2C726
	v_cmp_lt_u32_e64 s[40:41], v30, v53                        // 000000004E90: D0C90028 00026B1E
	v_add_u32_e32 v30, 64, v30                                 // 000000004E98: 683C3CC0
	s_nop 0                                                    // 000000004E9C: BF800000
	v_cndmask_b32_e64 v100, v38, v100, s[40:41]                // 000000004EA0: D1000064 00A2C926
	v_cmp_lt_u32_e64 s[40:41], v31, v53                        // 000000004EA8: D0C90028 00026B1F
	v_add_u32_e32 v31, 64, v31                                 // 000000004EB0: 683E3EC0
	s_nop 0                                                    // 000000004EB4: BF800000
	v_cndmask_b32_e64 v101, v38, v101, s[40:41]                // 000000004EB8: D1000065 00A2CB26
	v_cmp_lt_u32_e64 s[40:41], v32, v53                        // 000000004EC0: D0C90028 00026B20
	v_add_u32_e32 v32, 64, v32                                 // 000000004EC8: 684040C0
	s_nop 0                                                    // 000000004ECC: BF800000
	v_cndmask_b32_e64 v102, v38, v102, s[40:41]                // 000000004ED0: D1000066 00A2CD26
	v_cmp_lt_u32_e64 s[40:41], v33, v53                        // 000000004ED8: D0C90028 00026B21
	v_add_u32_e32 v33, 64, v33                                 // 000000004EE0: 684242C0
	s_nop 0                                                    // 000000004EE4: BF800000
	v_cndmask_b32_e64 v103, v38, v103, s[40:41]                // 000000004EE8: D1000067 00A2CF26
	v_cmp_lt_u32_e64 s[40:41], v30, v53                        // 000000004EF0: D0C90028 00026B1E
	v_add_u32_e32 v30, 64, v30                                 // 000000004EF8: 683C3CC0
	s_nop 0                                                    // 000000004EFC: BF800000
	v_cndmask_b32_e64 v104, v38, v104, s[40:41]                // 000000004F00: D1000068 00A2D126
	v_cmp_lt_u32_e64 s[40:41], v31, v53                        // 000000004F08: D0C90028 00026B1F
	v_add_u32_e32 v31, 64, v31                                 // 000000004F10: 683E3EC0
	s_nop 0                                                    // 000000004F14: BF800000
	v_cndmask_b32_e64 v105, v38, v105, s[40:41]                // 000000004F18: D1000069 00A2D326
	v_cmp_lt_u32_e64 s[40:41], v32, v53                        // 000000004F20: D0C90028 00026B20
	v_add_u32_e32 v32, 64, v32                                 // 000000004F28: 684040C0
	s_nop 0                                                    // 000000004F2C: BF800000
	v_cndmask_b32_e64 v106, v38, v106, s[40:41]                // 000000004F30: D100006A 00A2D526
	v_cmp_lt_u32_e64 s[40:41], v33, v53                        // 000000004F38: D0C90028 00026B21
	v_add_u32_e32 v33, 64, v33                                 // 000000004F40: 684242C0
	s_nop 0                                                    // 000000004F44: BF800000
	v_cndmask_b32_e64 v107, v38, v107, s[40:41]                // 000000004F48: D100006B 00A2D726
	v_cmp_lt_u32_e64 s[40:41], v30, v53                        // 000000004F50: D0C90028 00026B1E
	v_add_u32_e32 v30, 64, v30                                 // 000000004F58: 683C3CC0
	s_nop 0                                                    // 000000004F5C: BF800000
	v_cndmask_b32_e64 v108, v38, v108, s[40:41]                // 000000004F60: D100006C 00A2D926
	v_cmp_lt_u32_e64 s[40:41], v31, v53                        // 000000004F68: D0C90028 00026B1F
	v_add_u32_e32 v31, 64, v31                                 // 000000004F70: 683E3EC0
	s_nop 0                                                    // 000000004F74: BF800000
	v_cndmask_b32_e64 v109, v38, v109, s[40:41]                // 000000004F78: D100006D 00A2DB26
	v_cmp_lt_u32_e64 s[40:41], v32, v53                        // 000000004F80: D0C90028 00026B20
	v_add_u32_e32 v32, 64, v32                                 // 000000004F88: 684040C0
	s_nop 0                                                    // 000000004F8C: BF800000
	v_cndmask_b32_e64 v110, v38, v110, s[40:41]                // 000000004F90: D100006E 00A2DD26
	v_cmp_lt_u32_e64 s[40:41], v33, v53                        // 000000004F98: D0C90028 00026B21
	v_add_u32_e32 v33, 64, v33                                 // 000000004FA0: 684242C0
	s_nop 0                                                    // 000000004FA4: BF800000
	v_cndmask_b32_e64 v111, v38, v111, s[40:41]                // 000000004FA8: D100006F 00A2DF26
	s_nop 8                                                    // 000000004FB0: BF800008
	v_mov_b32_e32 v48, v96                                     // 000000004FB4: 7E600360
	v_max3_f32 v48, v96, v97, v48                              // 000000004FB8: D1D30030 04C2C360
	v_max3_f32 v48, v98, v99, v48                              // 000000004FC0: D1D30030 04C2C762
	v_max3_f32 v48, v100, v101, v48                            // 000000004FC8: D1D30030 04C2CB64
	v_max3_f32 v48, v102, v103, v48                            // 000000004FD0: D1D30030 04C2CF66
	v_max3_f32 v48, v104, v105, v48                            // 000000004FD8: D1D30030 04C2D368
	v_max3_f32 v48, v106, v107, v48                            // 000000004FE0: D1D30030 04C2D76A
	v_max3_f32 v48, v108, v109, v48                            // 000000004FE8: D1D30030 04C2DB6C
	v_max3_f32 v48, v110, v111, v48                            // 000000004FF0: D1D30030 04C2DF6E
	ds_write_b32 v11, v48 offset:4224                          // 000000004FF8: D81A1080 0000300B
	s_waitcnt lgkmcnt(0)                                       // 000000005000: BF8CC07F
	s_barrier                                                  // 000000005004: BF8A0000
	ds_read_b32 v64, v10 offset:4224                           // 000000005008: D86C1080 4000000A
	ds_read_b32 v65, v10 offset:4288                           // 000000005010: D86C10C0 4100000A
	ds_read_b32 v66, v10 offset:4352                           // 000000005018: D86C1100 4200000A
	ds_read_b32 v67, v10 offset:4416                           // 000000005020: D86C1140 4300000A
	ds_read_b32 v68, v10 offset:4480                           // 000000005028: D86C1180 4400000A
	ds_read_b32 v69, v10 offset:4544                           // 000000005030: D86C11C0 4500000A
	ds_read_b32 v70, v10 offset:4608                           // 000000005038: D86C1200 4600000A
	ds_read_b32 v71, v10 offset:4672                           // 000000005040: D86C1240 4700000A
	ds_read_b32 v72, v10 offset:4736                           // 000000005048: D86C1280 4800000A
	ds_read_b32 v73, v10 offset:4800                           // 000000005050: D86C12C0 4900000A
	ds_read_b32 v74, v10 offset:4864                           // 000000005058: D86C1300 4A00000A
	ds_read_b32 v75, v10 offset:4928                           // 000000005060: D86C1340 4B00000A
	ds_read_b32 v76, v10 offset:4992                           // 000000005068: D86C1380 4C00000A
	ds_read_b32 v77, v10 offset:5056                           // 000000005070: D86C13C0 4D00000A
	ds_read_b32 v78, v10 offset:5120                           // 000000005078: D86C1400 4E00000A
	ds_read_b32 v79, v10 offset:5184                           // 000000005080: D86C1440 4F00000A
	s_waitcnt lgkmcnt(0)                                       // 000000005088: BF8CC07F
	v_max3_f32 v48, v64, v65, v48                              // 00000000508C: D1D30030 04C28340
	v_max3_f32 v48, v66, v67, v48                              // 000000005094: D1D30030 04C28742
	v_max3_f32 v48, v68, v69, v48                              // 00000000509C: D1D30030 04C28B44
	v_max3_f32 v48, v70, v71, v48                              // 0000000050A4: D1D30030 04C28F46
	v_max3_f32 v48, v72, v73, v48                              // 0000000050AC: D1D30030 04C29348
	v_max3_f32 v48, v74, v75, v48                              // 0000000050B4: D1D30030 04C2974A
	v_max3_f32 v48, v76, v77, v48                              // 0000000050BC: D1D30030 04C29B4C
	v_max3_f32 v48, v78, v79, v48                              // 0000000050C4: D1D30030 04C29F4E
	v_cmp_eq_u32_e64 s[40:41], v52, v14                        // 0000000050CC: D0CA0028 00021D34
	s_nop 1                                                    // 0000000050D4: BF800001
	v_max_f32_e32 v15, v48, v14                                // 0000000050D8: 161E1D30
	v_sub_f32_e32 v49, v14, v15                                // 0000000050DC: 04621F0E
	v_cndmask_b32_e64 v49, v49, 0, s[40:41]                    // 0000000050E0: D1000031 00A10131
	v_mov_b32_e32 v14, v15                                     // 0000000050E8: 7E1C030F
	v_mul_f32_e32 v50, s64, v15                                // 0000000050EC: 0A641E40
	v_mul_f32_e32 v49, s64, v49                                // 0000000050F0: 0A626240
	v_exp_f32_e32 v49, v49                                     // 0000000050F4: 7E624131
	v_fma_f32 v96, v96, s64, -v50                              // 0000000050F8: D1CB0060 84C88160
	v_fma_f32 v97, v97, s64, -v50                              // 000000005100: D1CB0061 84C88161
	v_fma_f32 v98, v98, s64, -v50                              // 000000005108: D1CB0062 84C88162
	v_fma_f32 v99, v99, s64, -v50                              // 000000005110: D1CB0063 84C88163
	v_fma_f32 v100, v100, s64, -v50                            // 000000005118: D1CB0064 84C88164
	v_fma_f32 v101, v101, s64, -v50                            // 000000005120: D1CB0065 84C88165
	v_fma_f32 v102, v102, s64, -v50                            // 000000005128: D1CB0066 84C88166
	v_fma_f32 v103, v103, s64, -v50                            // 000000005130: D1CB0067 84C88167
	v_fma_f32 v104, v104, s64, -v50                            // 000000005138: D1CB0068 84C88168
	v_fma_f32 v105, v105, s64, -v50                            // 000000005140: D1CB0069 84C88169
	v_fma_f32 v106, v106, s64, -v50                            // 000000005148: D1CB006A 84C8816A
	v_fma_f32 v107, v107, s64, -v50                            // 000000005150: D1CB006B 84C8816B
	v_fma_f32 v108, v108, s64, -v50                            // 000000005158: D1CB006C 84C8816C
	v_fma_f32 v109, v109, s64, -v50                            // 000000005160: D1CB006D 84C8816D
	v_fma_f32 v110, v110, s64, -v50                            // 000000005168: D1CB006E 84C8816E
	v_fma_f32 v111, v111, s64, -v50                            // 000000005170: D1CB006F 84C8816F
	v_exp_f32_e32 v96, v96                                     // 000000005178: 7EC04160
	v_exp_f32_e32 v97, v97                                     // 00000000517C: 7EC24161
	v_exp_f32_e32 v98, v98                                     // 000000005180: 7EC44162
	v_exp_f32_e32 v99, v99                                     // 000000005184: 7EC64163
	v_exp_f32_e32 v100, v100                                   // 000000005188: 7EC84164
	v_exp_f32_e32 v101, v101                                   // 00000000518C: 7ECA4165
	v_exp_f32_e32 v102, v102                                   // 000000005190: 7ECC4166
	v_exp_f32_e32 v103, v103                                   // 000000005194: 7ECE4167
	v_exp_f32_e32 v104, v104                                   // 000000005198: 7ED04168
	v_exp_f32_e32 v105, v105                                   // 00000000519C: 7ED24169
	v_exp_f32_e32 v106, v106                                   // 0000000051A0: 7ED4416A
	v_exp_f32_e32 v107, v107                                   // 0000000051A4: 7ED6416B
	v_exp_f32_e32 v108, v108                                   // 0000000051A8: 7ED8416C
	v_exp_f32_e32 v109, v109                                   // 0000000051AC: 7EDA416D
	v_exp_f32_e32 v110, v110                                   // 0000000051B0: 7EDC416E
	v_exp_f32_e32 v111, v111                                   // 0000000051B4: 7EDE416F
	v_mul_f32_e32 v42, v49, v42                                // 0000000051B8: 0A545531
	v_mov_b32_e32 v43, v96                                     // 0000000051BC: 7E560360
	v_add_f32_e32 v43, v97, v43                                // 0000000051C0: 02565761
	v_add_f32_e32 v43, v98, v43                                // 0000000051C4: 02565762
	v_add_f32_e32 v43, v99, v43                                // 0000000051C8: 02565763
	v_add_f32_e32 v43, v100, v43                               // 0000000051CC: 02565764
	v_add_f32_e32 v43, v101, v43                               // 0000000051D0: 02565765
	v_add_f32_e32 v43, v102, v43                               // 0000000051D4: 02565766
	v_add_f32_e32 v43, v103, v43                               // 0000000051D8: 02565767
	v_add_f32_e32 v43, v104, v43                               // 0000000051DC: 02565768
	v_add_f32_e32 v43, v105, v43                               // 0000000051E0: 02565769
	v_add_f32_e32 v43, v106, v43                               // 0000000051E4: 0256576A
	v_add_f32_e32 v43, v107, v43                               // 0000000051E8: 0256576B
	v_add_f32_e32 v43, v108, v43                               // 0000000051EC: 0256576C
	v_add_f32_e32 v43, v109, v43                               // 0000000051F0: 0256576D
	v_add_f32_e32 v43, v110, v43                               // 0000000051F4: 0256576E
	v_add_f32_e32 v43, v111, v43                               // 0000000051F8: 0256576F
	v_add_f32_e32 v42, v43, v42                                // 0000000051FC: 0254552B
	v_cvt_pkrtz_f16_f32 v38, v96, v97                          // 000000005200: D2960026 0002C360
	v_mov_b32_e32 v96, v38                                     // 000000005208: 7EC00326
	v_cvt_pkrtz_f16_f32 v38, v98, v99                          // 00000000520C: D2960026 0002C762
	v_mov_b32_e32 v97, v38                                     // 000000005214: 7EC20326
	v_cvt_pkrtz_f16_f32 v38, v100, v101                        // 000000005218: D2960026 0002CB64
	v_mov_b32_e32 v98, v38                                     // 000000005220: 7EC40326
	v_cvt_pkrtz_f16_f32 v38, v102, v103                        // 000000005224: D2960026 0002CF66
	v_mov_b32_e32 v99, v38                                     // 00000000522C: 7EC60326
	v_cvt_pkrtz_f16_f32 v38, v104, v105                        // 000000005230: D2960026 0002D368
	v_mov_b32_e32 v100, v38                                    // 000000005238: 7EC80326
	v_cvt_pkrtz_f16_f32 v38, v106, v107                        // 00000000523C: D2960026 0002D76A
	v_mov_b32_e32 v101, v38                                    // 000000005244: 7ECA0326
	v_cvt_pkrtz_f16_f32 v38, v108, v109                        // 000000005248: D2960026 0002DB6C
	v_mov_b32_e32 v102, v38                                    // 000000005250: 7ECC0326
	v_cvt_pkrtz_f16_f32 v38, v110, v111                        // 000000005254: D2960026 0002DF6E
	v_mov_b32_e32 v103, v38                                    // 00000000525C: 7ECE0326
	ds_write_b64 v13, v[96:97] offset:5248                     // 000000005260: D89A1480 0000600D
	ds_write_b64 v13, v[98:99] offset:7296                     // 000000005268: D89A1C80 0000620D
	ds_write_b64 v13, v[100:101] offset:9344                   // 000000005270: D89A2480 0000640D
	ds_write_b64 v13, v[102:103] offset:11392                  // 000000005278: D89A2C80 0000660D
	s_waitcnt lgkmcnt(0)                                       // 000000005280: BF8CC07F
	s_barrier                                                  // 000000005284: BF8A0000
	ds_read_b64 v[96:97], v12 offset:5248                      // 000000005288: D8EC1480 6000000C
	ds_read_b64 v[98:99], v12 offset:5376                      // 000000005290: D8EC1500 6200000C
	ds_read_b64 v[100:101], v12 offset:6272                    // 000000005298: D8EC1880 6400000C
	ds_read_b64 v[102:103], v12 offset:6400                    // 0000000052A0: D8EC1900 6600000C
	ds_read_b64 v[104:105], v12 offset:7296                    // 0000000052A8: D8EC1C80 6800000C
	ds_read_b64 v[106:107], v12 offset:7424                    // 0000000052B0: D8EC1D00 6A00000C
	ds_read_b64 v[108:109], v12 offset:8320                    // 0000000052B8: D8EC2080 6C00000C
	ds_read_b64 v[110:111], v12 offset:8448                    // 0000000052C0: D8EC2100 6E00000C
	ds_read_b64 v[112:113], v12 offset:9344                    // 0000000052C8: D8EC2480 7000000C
	ds_read_b64 v[114:115], v12 offset:9472                    // 0000000052D0: D8EC2500 7200000C
	ds_read_b64 v[116:117], v12 offset:10368                   // 0000000052D8: D8EC2880 7400000C
	ds_read_b64 v[118:119], v12 offset:10496                   // 0000000052E0: D8EC2900 7600000C
	ds_read_b64 v[120:121], v12 offset:11392                   // 0000000052E8: D8EC2C80 7800000C
	ds_read_b64 v[122:123], v12 offset:11520                   // 0000000052F0: D8EC2D00 7A00000C
	ds_read_b64 v[124:125], v12 offset:12416                   // 0000000052F8: D8EC3080 7C00000C
	ds_read_b64 v[126:127], v12 offset:12544                   // 000000005300: D8EC3100 7E00000C
	s_waitcnt lgkmcnt(0)                                       // 000000005308: BF8CC07F
	v_mul_f32_e32 v128, v49, v128                              // 00000000530C: 0B010131
	v_mul_f32_e32 v129, v49, v129                              // 000000005310: 0B030331
	v_mul_f32_e32 v130, v49, v130                              // 000000005314: 0B050531
	v_mul_f32_e32 v131, v49, v131                              // 000000005318: 0B070731
	v_mul_f32_e32 v132, v49, v132                              // 00000000531C: 0B090931
	v_mul_f32_e32 v133, v49, v133                              // 000000005320: 0B0B0B31
	v_mul_f32_e32 v134, v49, v134                              // 000000005324: 0B0D0D31
	v_mul_f32_e32 v135, v49, v135                              // 000000005328: 0B0F0F31
	s_waitcnt vmcnt(0)                                         // 00000000532C: BF8C0F70
	s_barrier                                                  // 000000005330: BF8A0000
	v_mfma_f32_16x16x16_f16 v[128:131], a[192:193], v[96:97], v[128:131]// 000000005334: D3CD0080 0E02C1C0
	v_mfma_f32_16x16x16_f16 v[128:131], a[194:195], v[98:99], v[128:131]// 00000000533C: D3CD0080 0E02C5C2
	v_mfma_f32_16x16x16_f16 v[128:131], a[196:197], v[100:101], v[128:131]// 000000005344: D3CD0080 0E02C9C4
	v_mfma_f32_16x16x16_f16 v[128:131], a[198:199], v[102:103], v[128:131]// 00000000534C: D3CD0080 0E02CDC6
	v_mfma_f32_16x16x16_f16 v[128:131], a[200:201], v[104:105], v[128:131]// 000000005354: D3CD0080 0E02D1C8
	v_mfma_f32_16x16x16_f16 v[128:131], a[202:203], v[106:107], v[128:131]// 00000000535C: D3CD0080 0E02D5CA
	v_mfma_f32_16x16x16_f16 v[128:131], a[204:205], v[108:109], v[128:131]// 000000005364: D3CD0080 0E02D9CC
	v_mfma_f32_16x16x16_f16 v[128:131], a[206:207], v[110:111], v[128:131]// 00000000536C: D3CD0080 0E02DDCE
	v_mfma_f32_16x16x16_f16 v[128:131], a[208:209], v[112:113], v[128:131]// 000000005374: D3CD0080 0E02E1D0
	v_mfma_f32_16x16x16_f16 v[128:131], a[210:211], v[114:115], v[128:131]// 00000000537C: D3CD0080 0E02E5D2
	v_mfma_f32_16x16x16_f16 v[128:131], a[212:213], v[116:117], v[128:131]// 000000005384: D3CD0080 0E02E9D4
	v_mfma_f32_16x16x16_f16 v[128:131], a[214:215], v[118:119], v[128:131]// 00000000538C: D3CD0080 0E02EDD6
	v_mfma_f32_16x16x16_f16 v[128:131], a[216:217], v[120:121], v[128:131]// 000000005394: D3CD0080 0E02F1D8
	v_mfma_f32_16x16x16_f16 v[128:131], a[218:219], v[122:123], v[128:131]// 00000000539C: D3CD0080 0E02F5DA
	v_mfma_f32_16x16x16_f16 v[128:131], a[220:221], v[124:125], v[128:131]// 0000000053A4: D3CD0080 0E02F9DC
	v_mfma_f32_16x16x16_f16 v[128:131], a[222:223], v[126:127], v[128:131]// 0000000053AC: D3CD0080 0E02FDDE
	v_mfma_f32_16x16x16_f16 v[132:135], a[224:225], v[96:97], v[132:135]// 0000000053B4: D3CD0084 0E12C1E0
	v_mfma_f32_16x16x16_f16 v[132:135], a[226:227], v[98:99], v[132:135]// 0000000053BC: D3CD0084 0E12C5E2
	v_mfma_f32_16x16x16_f16 v[132:135], a[228:229], v[100:101], v[132:135]// 0000000053C4: D3CD0084 0E12C9E4
	v_mfma_f32_16x16x16_f16 v[132:135], a[230:231], v[102:103], v[132:135]// 0000000053CC: D3CD0084 0E12CDE6
	v_mfma_f32_16x16x16_f16 v[132:135], a[232:233], v[104:105], v[132:135]// 0000000053D4: D3CD0084 0E12D1E8
	v_mfma_f32_16x16x16_f16 v[132:135], a[234:235], v[106:107], v[132:135]// 0000000053DC: D3CD0084 0E12D5EA
	v_mfma_f32_16x16x16_f16 v[132:135], a[236:237], v[108:109], v[132:135]// 0000000053E4: D3CD0084 0E12D9EC
	v_mfma_f32_16x16x16_f16 v[132:135], a[238:239], v[110:111], v[132:135]// 0000000053EC: D3CD0084 0E12DDEE
	v_mfma_f32_16x16x16_f16 v[132:135], a[240:241], v[112:113], v[132:135]// 0000000053F4: D3CD0084 0E12E1F0
	v_mfma_f32_16x16x16_f16 v[132:135], a[242:243], v[114:115], v[132:135]// 0000000053FC: D3CD0084 0E12E5F2
	v_mfma_f32_16x16x16_f16 v[132:135], a[244:245], v[116:117], v[132:135]// 000000005404: D3CD0084 0E12E9F4
	v_mfma_f32_16x16x16_f16 v[132:135], a[246:247], v[118:119], v[132:135]// 00000000540C: D3CD0084 0E12EDF6
	v_mfma_f32_16x16x16_f16 v[132:135], a[248:249], v[120:121], v[132:135]// 000000005414: D3CD0084 0E12F1F8
	v_mfma_f32_16x16x16_f16 v[132:135], a[250:251], v[122:123], v[132:135]// 00000000541C: D3CD0084 0E12F5FA
	v_mfma_f32_16x16x16_f16 v[132:135], a[252:253], v[124:125], v[132:135]// 000000005424: D3CD0084 0E12F9FC
	v_mfma_f32_16x16x16_f16 v[132:135], a[254:255], v[126:127], v[132:135]// 00000000542C: D3CD0084 0E12FDFE
	s_nop 8                                                    // 000000005434: BF800008
	s_branch label_0C8F                                        // 000000005438: BF820000

000000000000543c <label_0C8F>:
	ds_write_b32 v11, v42 offset:4224                          // 00000000543C: D81A1080 00002A0B
	s_waitcnt lgkmcnt(0)                                       // 000000005444: BF8CC07F
	s_barrier                                                  // 000000005448: BF8A0000
	ds_read_b32 v64, v10 offset:4224                           // 00000000544C: D86C1080 4000000A
	ds_read_b32 v65, v10 offset:4288                           // 000000005454: D86C10C0 4100000A
	ds_read_b32 v66, v10 offset:4352                           // 00000000545C: D86C1100 4200000A
	ds_read_b32 v67, v10 offset:4416                           // 000000005464: D86C1140 4300000A
	ds_read_b32 v68, v10 offset:4480                           // 00000000546C: D86C1180 4400000A
	ds_read_b32 v69, v10 offset:4544                           // 000000005474: D86C11C0 4500000A
	ds_read_b32 v70, v10 offset:4608                           // 00000000547C: D86C1200 4600000A
	ds_read_b32 v71, v10 offset:4672                           // 000000005484: D86C1240 4700000A
	ds_read_b32 v72, v10 offset:4736                           // 00000000548C: D86C1280 4800000A
	ds_read_b32 v73, v10 offset:4800                           // 000000005494: D86C12C0 4900000A
	ds_read_b32 v74, v10 offset:4864                           // 00000000549C: D86C1300 4A00000A
	ds_read_b32 v75, v10 offset:4928                           // 0000000054A4: D86C1340 4B00000A
	ds_read_b32 v76, v10 offset:4992                           // 0000000054AC: D86C1380 4C00000A
	ds_read_b32 v77, v10 offset:5056                           // 0000000054B4: D86C13C0 4D00000A
	ds_read_b32 v78, v10 offset:5120                           // 0000000054BC: D86C1400 4E00000A
	ds_read_b32 v79, v10 offset:5184                           // 0000000054C4: D86C1440 4F00000A
	s_waitcnt lgkmcnt(0)                                       // 0000000054CC: BF8CC07F
	v_mov_b32_e32 v42, 0                                       // 0000000054D0: 7E540280
	v_add_f32_e32 v42, v64, v42                                // 0000000054D4: 02545540
	v_add_f32_e32 v42, v65, v42                                // 0000000054D8: 02545541
	v_add_f32_e32 v42, v66, v42                                // 0000000054DC: 02545542
	v_add_f32_e32 v42, v67, v42                                // 0000000054E0: 02545543
	v_add_f32_e32 v42, v68, v42                                // 0000000054E4: 02545544
	v_add_f32_e32 v42, v69, v42                                // 0000000054E8: 02545545
	v_add_f32_e32 v42, v70, v42                                // 0000000054EC: 02545546
	v_add_f32_e32 v42, v71, v42                                // 0000000054F0: 02545547
	v_add_f32_e32 v42, v72, v42                                // 0000000054F4: 02545548
	v_add_f32_e32 v42, v73, v42                                // 0000000054F8: 02545549
	v_add_f32_e32 v42, v74, v42                                // 0000000054FC: 0254554A
	v_add_f32_e32 v42, v75, v42                                // 000000005500: 0254554B
	v_add_f32_e32 v42, v76, v42                                // 000000005504: 0254554C
	v_add_f32_e32 v42, v77, v42                                // 000000005508: 0254554D
	v_add_f32_e32 v42, v78, v42                                // 00000000550C: 0254554E
	v_add_f32_e32 v42, v79, v42                                // 000000005510: 0254554F
	s_nop 1                                                    // 000000005514: BF800001
	v_rcp_f32_e32 v42, v42                                     // 000000005518: 7E54452A
	s_nop 1                                                    // 00000000551C: BF800001
	v_mul_f32_e32 v128, v42, v128                              // 000000005520: 0B01012A
	v_mul_f32_e32 v129, v42, v129                              // 000000005524: 0B03032A
	v_mul_f32_e32 v130, v42, v130                              // 000000005528: 0B05052A
	v_mul_f32_e32 v131, v42, v131                              // 00000000552C: 0B07072A
	v_mul_f32_e32 v132, v42, v132                              // 000000005530: 0B09092A
	v_mul_f32_e32 v133, v42, v133                              // 000000005534: 0B0B0B2A
	v_mul_f32_e32 v134, v42, v134                              // 000000005538: 0B0D0D2A
	v_mul_f32_e32 v135, v42, v135                              // 00000000553C: 0B0F0F2A
	v_cvt_pkrtz_f16_f32 v38, v128, v129                        // 000000005540: D2960026 00030380
	v_mov_b32_e32 v128, v38                                    // 000000005548: 7F000326
	v_cvt_pkrtz_f16_f32 v38, v130, v131                        // 00000000554C: D2960026 00030782
	v_mov_b32_e32 v129, v38                                    // 000000005554: 7F020326
	v_cvt_pkrtz_f16_f32 v38, v132, v133                        // 000000005558: D2960026 00030B84
	v_mov_b32_e32 v130, v38                                    // 000000005560: 7F040326
	v_cvt_pkrtz_f16_f32 v38, v134, v135                        // 000000005564: D2960026 00030F86
	v_mov_b32_e32 v131, v38                                    // 00000000556C: 7F060326
	v_lshrrev_b32_e32 v38, 4, v0                               // 000000005570: 204C0084
	v_mul_i32_i24_e32 v5, 34, v38                              // 000000005574: 0C0A4CA2
	v_and_b32_e32 v38, 15, v0                                  // 000000005578: 264C008F
	v_mul_i32_i24_e32 v39, 2, v38                              // 00000000557C: 0C4E4C82
	v_add_u32_e32 v5, v39, v5                                  // 000000005580: 680A0B27
	s_mul_i32 s60, s7, 0x88                                    // 000000005584: 923CFF07 00000088
	v_add_u32_e32 v5, s60, v5                                  // 00000000558C: 680A0A3C
	v_lshlrev_b32_e32 v5, 2, v5                                // 000000005590: 240A0A82
	ds_write_b64 v5, v[128:129] offset:21632                   // 000000005594: D89A5480 00008005
	ds_write_b64 v5, v[130:131] offset:23808                   // 00000000559C: D89A5D00 00008205
	v_lshrrev_b32_e32 v38, 1, v0                               // 0000000055A4: 204C0081
	v_mul_i32_i24_e32 v5, 34, v38                              // 0000000055A8: 0C0A4CA2
	v_and_b32_e32 v39, 1, v0                                   // 0000000055AC: 264E0081
	v_add_u32_e32 v5, v39, v5                                  // 0000000055B0: 680A0B27
	s_mul_i32 s60, s7, 2                                       // 0000000055B4: 923C8207
	v_add_u32_e32 v5, s60, v5                                  // 0000000055B8: 680A0A3C
	v_lshlrev_b32_e32 v5, 2, v5                                // 0000000055BC: 240A0A82
	s_waitcnt lgkmcnt(0)                                       // 0000000055C0: BF8CC07F
	s_barrier                                                  // 0000000055C4: BF8A0000
	ds_read_b32 v128, v5 offset:21632                          // 0000000055C8: D86C5480 80000005
	ds_read_b32 v129, v5 offset:21664                          // 0000000055D0: D86C54A0 81000005
	ds_read_b32 v130, v5 offset:21696                          // 0000000055D8: D86C54C0 82000005
	ds_read_b32 v131, v5 offset:21728                          // 0000000055E0: D86C54E0 83000005
	s_waitcnt lgkmcnt(0)                                       // 0000000055E8: BF8CC07F
	buffer_store_dword v128, v8, s[8:11], 0 offen              // 0000000055EC: E0701000 80028008
	buffer_store_dword v129, v8, s[8:11], 0 offen offset:1024  // 0000000055F4: E0701400 80028108
	buffer_store_dword v130, v8, s[8:11], 0 offen offset:2048  // 0000000055FC: E0701800 80028208
	buffer_store_dword v131, v8, s[8:11], 0 offen offset:3072  // 000000005604: E0701C00 80028308
	s_waitcnt vmcnt(0) expcnt(0) lgkmcnt(0)                    // 00000000560C: BF8C0000
	s_endpgm                                                   // 000000005610: BF810000
